;; amdgpu-corpus repo=ROCm/rccl kind=compiled arch=gfx1030 opt=O3
	.amdgcn_target "amdgcn-amd-amdhsa--gfx1030"
	.amdhsa_code_object_version 6
	.text
	.p2align	2                               ; -- Begin function _ZN12_GLOBAL__N_17runRingI12rccl_bfloat810FuncMinMaxIS1_E7ProtoLLLi0ELi1ELi0EEEviiP15ncclDevWorkColl
	.type	_ZN12_GLOBAL__N_17runRingI12rccl_bfloat810FuncMinMaxIS1_E7ProtoLLLi0ELi1ELi0EEEviiP15ncclDevWorkColl,@function
_ZN12_GLOBAL__N_17runRingI12rccl_bfloat810FuncMinMaxIS1_E7ProtoLLLi0ELi1ELi0EEEviiP15ncclDevWorkColl: ; @_ZN12_GLOBAL__N_17runRingI12rccl_bfloat810FuncMinMaxIS1_E7ProtoLLLi0ELi1ELi0EEEviiP15ncclDevWorkColl
; %bb.0:
	s_waitcnt vmcnt(0) expcnt(0) lgkmcnt(0)
	buffer_store_dword v40, off, s[0:3], s32 offset:88 ; 4-byte Folded Spill
	buffer_store_dword v41, off, s[0:3], s32 offset:84 ; 4-byte Folded Spill
	;; [unrolled: 1-line block ×22, first 2 shown]
	buffer_store_dword v78, off, s[0:3], s32 ; 4-byte Folded Spill
	s_trap 2
	s_clause 0x2
	flat_load_dword v10, v[2:3]
	flat_load_dwordx4 v[5:8], v[2:3] offset:72
	flat_load_dwordx2 v[17:18], v[2:3] offset:88
	v_mov_b32_e32 v4, v0
                                        ; implicit-def: $vgpr25_vgpr26
	s_waitcnt vmcnt(2) lgkmcnt(2)
	v_not_b32_sdwa v0, v10 dst_sel:DWORD dst_unused:UNUSED_PAD src0_sel:BYTE_0
	ds_read_b32 v9, v0
	ds_read_b64 v[23:24], v0
	v_add_nc_u32_sdwa v11, v10, v0 dst_sel:DWORD dst_unused:UNUSED_PAD src0_sel:BYTE_1 src1_sel:DWORD
	v_ashrrev_i32_e32 v12, 31, v11
	s_waitcnt vmcnt(1) lgkmcnt(3)
	v_mul_lo_u32 v13, v8, v11
	v_mad_u64_u32 v[19:20], null, v7, v11, 0
	v_mul_lo_u32 v11, v7, v12
	v_add3_u32 v66, v20, v11, v13
	s_waitcnt lgkmcnt(1)
	v_readfirstlane_b32 s14, v9
	v_cmp_ne_u32_sdwa s4, v9, v10 src0_sel:DWORD src1_sel:BYTE_0
                                        ; implicit-def: $vgpr20_vgpr21
	s_and_saveexec_b32 s5, s4
	s_xor_b32 s4, exec_lo, s5
	s_cbranch_execz .LBB0_6
; %bb.1:
	v_cmp_ne_u32_sdwa s5, v9, v10 src0_sel:DWORD src1_sel:BYTE_1
                                        ; implicit-def: $vgpr20_vgpr21
                                        ; implicit-def: $vgpr25_vgpr26
	s_and_saveexec_b32 s6, s5
	s_xor_b32 s5, exec_lo, s6
	s_cbranch_execz .LBB0_3
; %bb.2:
	flat_load_dwordx2 v[10:11], v[2:3] offset:96
	v_add_nc_u32_e32 v0, v9, v0
	v_ashrrev_i32_e32 v9, 31, v0
	v_mul_lo_u32 v12, v8, v0
	v_mad_u64_u32 v[25:26], null, v7, v0, v[5:6]
	v_mul_lo_u32 v9, v7, v9
	v_add3_u32 v26, v12, v26, v9
	s_waitcnt vmcnt(0) lgkmcnt(0)
	v_lshrrev_b64 v[20:21], 17, v[10:11]
.LBB0_3:
	s_andn2_saveexec_b32 s5, s5
	s_cbranch_execz .LBB0_5
; %bb.4:
	flat_load_dword v0, v[2:3] offset:100
	v_add_co_u32 v25, vcc_lo, v19, v5
	s_waitcnt vmcnt(1)
	v_mov_b32_e32 v7, v17
	v_add_co_ci_u32_e64 v26, null, v66, v6, vcc_lo
	v_mov_b32_e32 v8, v18
	s_waitcnt vmcnt(0) lgkmcnt(0)
	v_lshrrev_b32_e32 v20, 6, v0
.LBB0_5:
	s_or_b32 exec_lo, exec_lo, s5
.LBB0_6:
	s_andn2_saveexec_b32 s4, s4
	s_cbranch_execz .LBB0_8
; %bb.7:
	flat_load_dwordx2 v[7:8], v[2:3] offset:96
	v_mov_b32_e32 v25, 0
	v_mov_b32_e32 v26, 0
	s_waitcnt vmcnt(0) lgkmcnt(0)
	v_lshlrev_b64 v[20:21], 4, v[7:8]
	v_mov_b32_e32 v8, v6
	v_mov_b32_e32 v7, v5
.LBB0_8:
	s_or_b32 exec_lo, exec_lo, s4
	s_load_dword s4, s[8:9], 0x0
	v_mov_b32_e32 v14, 0
	s_clause 0x2
	flat_load_dwordx2 v[52:53], v[2:3] offset:104
	flat_load_ushort v16, v[2:3] offset:8
	flat_load_dword v15, v[2:3] offset:4
	v_and_b32_e32 v38, 31, v4
	v_mov_b32_e32 v27, 0
	v_mov_b32_e32 v28, 0
	s_mov_b32 s6, 0
	s_waitcnt lgkmcnt(0)
	s_cmp_lt_u32 s12, s4
	s_cselect_b32 s4, 12, 18
	s_add_u32 s4, s8, s4
	s_addc_u32 s5, s9, 0
	flat_load_dwordx4 v[9:12], v[2:3] offset:16
	global_load_ushort v0, v14, s[4:5]
	s_trap 2
	v_cmp_eq_u32_e64 s4, 0, v38
	s_waitcnt vmcnt(2)
	v_lshrrev_b64 v[2:3], 31, v[15:16]
	v_and_b32_e32 v2, 3, v2
	v_and_b32_e32 v15, 0xffff, v2
	s_waitcnt vmcnt(0)
	ds_read_b32 v13, v0
	s_waitcnt lgkmcnt(0)
	v_cmp_gt_i32_e32 vcc_lo, 0, v13
	v_readfirstlane_b32 s5, v13
	s_cbranch_vccnz .LBB0_10
; %bb.9:
	s_trap 2
	ds_read_b64 v[2:3], v0
	v_lshlrev_b64 v[13:14], 3, v[13:14]
	s_mov_b32 s6, 1
	s_waitcnt lgkmcnt(0)
	v_add_co_u32 v2, vcc_lo, v2, v13
	v_add_co_ci_u32_e64 v3, null, v3, v14, vcc_lo
	flat_load_dwordx2 v[2:3], v[2:3]
	s_waitcnt vmcnt(0) lgkmcnt(0)
	v_mad_u64_u32 v[2:3], null, 0xa8, v15, v[2:3]
	s_clause 0x1
	flat_load_dwordx2 v[32:33], v[2:3] offset:504
	flat_load_dwordx2 v[34:35], v[2:3] offset:608
	v_add_co_u32 v29, vcc_lo, 0x1f8, v2
	v_add_co_ci_u32_e64 v30, null, 0, v3, vcc_lo
	v_cndmask_b32_e64 v2, 0, v29, s4
	v_cndmask_b32_e64 v3, 0, v30, s4
	s_branch .LBB0_11
.LBB0_10:
	v_mov_b32_e32 v29, 0
	v_mov_b32_e32 v2, 0
	;; [unrolled: 1-line block ×4, first 2 shown]
                                        ; implicit-def: $vgpr34_vgpr35
                                        ; implicit-def: $vgpr32_vgpr33
.LBB0_11:
	s_trap 2
	ds_read_b32 v13, v0
	s_waitcnt lgkmcnt(0)
	v_cmp_gt_i32_e32 vcc_lo, 0, v13
	s_cbranch_vccnz .LBB0_13
; %bb.12:
	s_trap 2
	ds_read_b64 v[21:22], v0
	v_mov_b32_e32 v14, 0
	v_lshlrev_b64 v[13:14], 3, v[13:14]
	s_waitcnt lgkmcnt(0)
	v_add_co_u32 v13, vcc_lo, v21, v13
	v_add_co_ci_u32_e64 v14, null, v22, v14, vcc_lo
	v_cmp_eq_u32_e32 vcc_lo, 0, v38
	flat_load_dwordx2 v[13:14], v[13:14]
	s_waitcnt vmcnt(0) lgkmcnt(0)
	v_mad_u64_u32 v[27:28], null, 0xa8, v15, v[13:14]
	s_clause 0x1
	flat_load_dwordx2 v[36:37], v[27:28]
	flat_load_dwordx2 v[21:22], v[27:28] offset:104
	v_cndmask_b32_e32 v16, 0, v28, vcc_lo
	v_cndmask_b32_e32 v15, 0, v27, vcc_lo
	s_branch .LBB0_14
.LBB0_13:
	v_mov_b32_e32 v15, 0
	v_mov_b32_e32 v16, 0
                                        ; implicit-def: $vgpr21_vgpr22
                                        ; implicit-def: $vgpr36_vgpr37
.LBB0_14:
	v_subrev_nc_u32_e32 v13, 32, v1
	v_cmp_gt_u32_e32 vcc_lo, s6, v38
	v_mov_b32_e32 v48, 0
	v_mov_b32_e32 v49, 0
                                        ; implicit-def: $vgpr38_vgpr39
	v_cmp_ge_i32_e64 s4, v4, v13
	v_mov_b32_e32 v13, 0
	v_mov_b32_e32 v14, 0
	s_and_b32 s16, s4, vcc_lo
	s_and_saveexec_b32 s4, s16
	s_cbranch_execz .LBB0_16
; %bb.15:
	s_clause 0x1
	flat_load_dwordx2 v[48:49], v[2:3] offset:56
	flat_load_dwordx2 v[38:39], v[2:3] offset:104
.LBB0_16:
	s_or_b32 exec_lo, exec_lo, s4
	v_mov_b32_e32 v50, 0
	v_mov_b32_e32 v51, 0
	v_cmp_gt_u32_e64 s4, s6, v4
                                        ; implicit-def: $vgpr54_vgpr55
	s_and_saveexec_b32 s6, s4
	s_cbranch_execz .LBB0_18
; %bb.17:
	flat_load_dwordx2 v[50:51], v[15:16] offset:56
	s_waitcnt vmcnt(0) lgkmcnt(0)
	flat_load_dwordx2 v[54:55], v[50:51] glc dlc
	s_waitcnt vmcnt(0)
	flat_load_dwordx4 v[13:16], v[15:16] offset:96
.LBB0_18:
	s_or_b32 exec_lo, exec_lo, s6
	v_mov_b32_e32 v2, 0
	v_mov_b32_e32 v3, 0
	s_mov_b32 s17, exec_lo
	v_cmpx_ne_u64_e32 0, v[7:8]
	s_cbranch_execz .LBB0_912
; %bb.19:
	s_ashr_i32 s6, s5, 31
	s_ashr_i32 s15, s14, 31
	s_lshr_b32 s6, s6, 29
	v_add_co_u32 v2, vcc_lo, v17, v5
	s_add_i32 s5, s5, s6
	s_lshl_b64 s[6:7], s[14:15], 2
	v_add_co_ci_u32_e64 v3, null, v18, v6, vcc_lo
	v_add_co_u32 v5, vcc_lo, v23, s6
	v_add_co_ci_u32_e64 v6, null, s7, v24, vcc_lo
	v_add_co_u32 v98, vcc_lo, v2, v19
	v_and_b32_e32 v2, 31, v31
	v_lshlrev_b32_e32 v101, 3, v4
	v_mov_b32_e32 v53, 0
	s_ashr_i32 s8, s5, 3
	v_add_co_ci_u32_e64 v99, null, v3, v66, vcc_lo
	v_add_co_u32 v66, vcc_lo, v5, -4
	s_and_b32 s15, s8, -16
	v_cmp_eq_u32_e64 s8, 0, v2
	v_and_b32_e32 v2, 1, v52
	v_add_co_ci_u32_e64 v67, null, -1, v6, vcc_lo
	v_add_co_u32 v103, vcc_lo, v11, v101
	v_mov_b32_e32 v5, v53
	v_add_co_ci_u32_e64 v112, null, 0, v12, vcc_lo
	v_add_co_u32 v113, vcc_lo, v9, v101
	v_cmp_eq_u32_e64 s9, 1, v2
	v_add_co_ci_u32_e64 v114, null, 0, v10, vcc_lo
	v_add_co_u32 v2, vcc_lo, v25, v11
	v_lshlrev_b64 v[9:10], 4, v[4:5]
	v_add_co_ci_u32_e64 v3, null, v26, v12, vcc_lo
	v_add_co_u32 v5, vcc_lo, v2, v101
	v_mov_b32_e32 v2, v53
	v_add_co_ci_u32_e64 v6, null, 0, v3, vcc_lo
	s_waitcnt vmcnt(1) lgkmcnt(1)
	v_add_co_u32 v116, vcc_lo, v36, v9
	s_ashr_i32 s18, s5, 7
	v_mov_b32_e32 v68, 0
	v_cmp_ne_u64_e64 s5, 0, v[50:51]
	s_waitcnt vmcnt(0) lgkmcnt(0)
	v_cmp_ne_u64_e64 s6, 0, v[13:14]
	v_cmp_ne_u64_e64 s10, 0, v[48:49]
	v_add_co_ci_u32_e64 v117, null, v37, v10, vcc_lo
	v_lshlrev_b64 v[9:10], 4, v[1:2]
	v_mov_b32_e32 v2, 0
	v_and_b32_e32 v64, 0x1fffff0, v20
	v_mov_b32_e32 v65, v53
	v_mov_b32_e32 v69, 0
	v_cmp_ne_u32_e64 s7, 32, v1
	v_cmp_ne_u32_sdwa s19, v1, v0 src0_sel:DWORD src1_sel:WORD_0
	v_lshrrev_b32_e32 v100, 5, v1
	v_lshlrev_b32_e32 v102, 3, v1
	v_lshlrev_b32_e32 v115, 6, v1
	v_mov_b32_e32 v118, 1
	v_mov_b32_e32 v119, 0x7f
	;; [unrolled: 1-line block ×8, first 2 shown]
	s_cmp_gt_i32 s14, 2
	s_mov_b32 s13, 0
	s_cselect_b32 s21, -1, 0
	s_mov_b32 s20, 0
	s_branch .LBB0_21
.LBB0_20:                               ;   in Loop: Header=BB0_21 Depth=1
	s_or_b32 exec_lo, exec_lo, s11
	v_add_co_u32 v68, vcc_lo, v68, v64
	v_add_co_ci_u32_e64 v69, null, 0, v69, vcc_lo
	v_add_co_u32 v34, vcc_lo, v34, 1
	v_add_co_ci_u32_e64 v35, null, 0, v35, vcc_lo
	v_cmp_ge_u64_e32 vcc_lo, v[68:69], v[7:8]
	v_add_co_u32 v5, s11, v5, v64
	v_add_co_ci_u32_e64 v6, null, 0, v6, s11
	s_or_b32 s20, vcc_lo, s20
	s_andn2_b32 exec_lo, exec_lo, s20
	s_cbranch_execz .LBB0_914
.LBB0_21:                               ; =>This Loop Header: Depth=1
                                        ;     Child Loop BB0_26 Depth 2
                                        ;     Child Loop BB0_45 Depth 2
                                        ;     Child Loop BB0_59 Depth 2
                                        ;     Child Loop BB0_66 Depth 2
                                        ;     Child Loop BB0_70 Depth 2
                                        ;       Child Loop BB0_75 Depth 3
                                        ;       Child Loop BB0_94 Depth 3
                                        ;       Child Loop BB0_110 Depth 3
                                        ;         Child Loop BB0_118 Depth 4
                                        ;       Child Loop BB0_484 Depth 3
                                        ;       Child Loop BB0_493 Depth 3
                                        ;     Child Loop BB0_504 Depth 2
                                        ;       Child Loop BB0_512 Depth 3
                                        ;     Child Loop BB0_898 Depth 2
	s_waitcnt vmcnt(0) lgkmcnt(0)
	flat_load_dword v19, v[66:67]
	v_sub_co_u32 v17, vcc_lo, v7, v68
	v_sub_co_ci_u32_e64 v18, null, v8, v69, vcc_lo
	v_cmp_lt_u64_e32 vcc_lo, v[64:65], v[17:18]
	v_cndmask_b32_e32 v20, v17, v64, vcc_lo
	v_lshl_add_u32 v17, v20, 1, 14
	v_and_b32_e32 v46, 0x7fffff0, v17
	s_and_saveexec_b32 s12, s5
	s_cbranch_execz .LBB0_37
; %bb.22:                               ;   in Loop: Header=BB0_21 Depth=1
	v_add_co_u32 v17, vcc_lo, v15, 1
	v_add_co_ci_u32_e64 v18, null, 0, v16, vcc_lo
	v_add_co_u32 v70, vcc_lo, v54, 8
	v_add_co_ci_u32_e64 v71, null, 0, v55, vcc_lo
	s_mov_b32 s22, exec_lo
	v_cmpx_lt_u64_e64 v[70:71], v[17:18]
	s_cbranch_execz .LBB0_34
; %bb.23:                               ;   in Loop: Header=BB0_21 Depth=1
	s_mov_b32 s23, 0
	s_mov_b32 s27, 0
	v_cmp_eq_u32_e32 vcc_lo, 0, v44
                                        ; implicit-def: $sgpr24
                                        ; implicit-def: $sgpr25
                                        ; implicit-def: $sgpr26
	s_branch .LBB0_26
.LBB0_24:                               ;   in Loop: Header=BB0_26 Depth=2
	s_or_b32 exec_lo, exec_lo, s42
	s_andn2_b32 s11, s26, exec_lo
	s_and_b32 s26, s40, exec_lo
	s_andn2_b32 s25, s25, exec_lo
	s_and_b32 s29, s29, exec_lo
	s_or_b32 s26, s11, s26
	s_or_b32 s25, s25, s29
.LBB0_25:                               ;   in Loop: Header=BB0_26 Depth=2
	s_or_b32 exec_lo, exec_lo, s28
	s_and_b32 s11, exec_lo, s25
	s_or_b32 s23, s11, s23
	s_andn2_b32 s11, s24, exec_lo
	s_and_b32 s24, s26, exec_lo
	s_or_b32 s24, s11, s24
	s_andn2_b32 exec_lo, exec_lo, s23
	s_cbranch_execz .LBB0_31
.LBB0_26:                               ;   Parent Loop BB0_21 Depth=1
                                        ; =>  This Inner Loop Header: Depth=2
	s_sleep 1
	s_waitcnt vmcnt(0) lgkmcnt(0)
	flat_load_dwordx2 v[54:55], v[50:51] glc dlc
	v_mov_b32_e32 v44, 1
	s_or_b32 s26, s26, exec_lo
	s_or_b32 s25, s25, exec_lo
                                        ; implicit-def: $vgpr16
	s_and_saveexec_b32 s28, vcc_lo
	s_cbranch_execz .LBB0_25
; %bb.27:                               ;   in Loop: Header=BB0_26 Depth=2
	s_add_i32 s27, s27, 1
	s_mov_b32 s29, -1
	s_cmpk_lg_i32 s27, 0x2710
	s_mov_b32 s40, -1
	s_cselect_b32 s41, -1, 0
	s_cmpk_eq_i32 s27, 0x2710
                                        ; implicit-def: $vgpr16
	s_cbranch_scc1 .LBB0_29
; %bb.28:                               ;   in Loop: Header=BB0_26 Depth=2
	v_mov_b32_e32 v44, 1
	s_and_saveexec_b32 s42, s41
	s_cbranch_execz .LBB0_24
	s_branch .LBB0_30
.LBB0_29:                               ;   in Loop: Header=BB0_26 Depth=2
	s_trap 2
	ds_read_b64 v[70:71], v0
	s_andn2_b32 s27, s41, exec_lo
	s_mov_b32 s40, 0
	s_waitcnt vmcnt(0) lgkmcnt(0)
	s_waitcnt_vscnt null, 0x0
	flat_load_dword v16, v[70:71] glc dlc
	s_waitcnt vmcnt(0) lgkmcnt(0)
	buffer_gl1_inv
	buffer_gl0_inv
	v_cmp_eq_u32_e64 s11, 0, v16
	s_and_b32 s11, s11, exec_lo
	s_or_b32 s41, s27, s11
	s_mov_b32 s27, 0
	v_mov_b32_e32 v44, 1
	s_and_saveexec_b32 s42, s41
	s_cbranch_execz .LBB0_24
.LBB0_30:                               ;   in Loop: Header=BB0_26 Depth=2
	s_waitcnt vmcnt(0) lgkmcnt(0)
	v_add_co_u32 v70, s11, v54, 8
	v_add_co_ci_u32_e64 v71, null, 0, v55, s11
	v_mov_b32_e32 v44, 0
	s_or_b32 s40, s40, exec_lo
	v_cmp_ge_u64_e64 s11, v[70:71], v[17:18]
	s_orn2_b32 s29, s11, exec_lo
	s_branch .LBB0_24
.LBB0_31:                               ;   in Loop: Header=BB0_21 Depth=1
	s_or_b32 exec_lo, exec_lo, s23
	s_xor_b32 s11, s24, -1
	s_and_saveexec_b32 s23, s11
	s_xor_b32 s11, exec_lo, s23
	s_cbranch_execz .LBB0_33
; %bb.32:                               ;   in Loop: Header=BB0_21 Depth=1
	v_mov_b32_e32 v44, 1
	s_waitcnt vmcnt(0) lgkmcnt(0)
	s_waitcnt_vscnt null, 0x0
	ds_write_b32 v0, v16
	s_trap 2
.LBB0_33:                               ;   in Loop: Header=BB0_21 Depth=1
	s_or_b32 exec_lo, exec_lo, s11
.LBB0_34:                               ;   in Loop: Header=BB0_21 Depth=1
	s_or_b32 exec_lo, exec_lo, s22
	s_and_saveexec_b32 s11, s6
	s_cbranch_execz .LBB0_36
; %bb.35:                               ;   in Loop: Header=BB0_21 Depth=1
	v_and_b32_e32 v52, 0x7ffffff8, v15
	v_and_b32_e32 v16, 7, v15
	v_cmp_eq_u64_e32 vcc_lo, 0x7ffffff8, v[52:53]
	v_mad_u64_u32 v[70:71], null, v16, 24, v[13:14]
	v_cndmask_b32_e64 v15, v46, s15, vcc_lo
	v_ashrrev_i32_e32 v16, 31, v15
	flat_store_dwordx2 v[70:71], v[15:16] offset:8
	s_waitcnt_vscnt null, 0x0
.LBB0_36:                               ;   in Loop: Header=BB0_21 Depth=1
	s_or_b32 exec_lo, exec_lo, s11
	v_mov_b32_e32 v15, v17
	v_mov_b32_e32 v16, v18
.LBB0_37:                               ;   in Loop: Header=BB0_21 Depth=1
	s_or_b32 exec_lo, exec_lo, s12
	s_and_saveexec_b32 s11, s7
	s_cbranch_execz .LBB0_56
; %bb.38:                               ;   in Loop: Header=BB0_21 Depth=1
	s_and_saveexec_b32 s12, s19
	s_xor_b32 s12, exec_lo, s12
	s_cbranch_execz .LBB0_53
; %bb.39:                               ;   in Loop: Header=BB0_21 Depth=1
	s_and_saveexec_b32 s22, s8
	s_cbranch_execz .LBB0_52
; %bb.40:                               ;   in Loop: Header=BB0_21 Depth=1
	s_mov_b32 s24, exec_lo
	s_mov_b32 s23, exec_lo
	v_mbcnt_lo_u32_b32 v17, s24, 0
	s_waitcnt vmcnt(0) lgkmcnt(0)
	s_waitcnt_vscnt null, 0x0
	buffer_gl1_inv
	buffer_gl0_inv
	v_cmpx_eq_u32_e32 0, v17
	s_cbranch_execz .LBB0_42
; %bb.41:                               ;   in Loop: Header=BB0_21 Depth=1
	s_bcnt1_i32_b32 s24, s24
	v_mov_b32_e32 v52, s24
	ds_add_u64 v0, v[52:53]
	s_trap 2
.LBB0_42:                               ;   in Loop: Header=BB0_21 Depth=1
	s_or_b32 exec_lo, exec_lo, s23
	s_trap 2
	ds_read_b64 v[17:18], v0
	s_waitcnt lgkmcnt(0)
	buffer_gl0_inv
	v_add_co_u32 v2, vcc_lo, v2, v100
	v_add_co_ci_u32_e64 v3, null, 0, v3, vcc_lo
	s_mov_b32 s23, exec_lo
	v_cmpx_lt_u64_e64 v[17:18], v[2:3]
	s_cbranch_execz .LBB0_51
; %bb.43:                               ;   in Loop: Header=BB0_21 Depth=1
	s_mov_b32 s24, 0
	s_mov_b32 s27, 0
                                        ; implicit-def: $sgpr25
                                        ; implicit-def: $sgpr26
	s_inst_prefetch 0x1
	s_branch .LBB0_45
	.p2align	6
.LBB0_44:                               ;   in Loop: Header=BB0_45 Depth=2
	s_or_b32 exec_lo, exec_lo, s29
	s_and_b32 s28, exec_lo, s40
	s_or_b32 s24, s28, s24
	s_andn2_b32 s25, s25, exec_lo
	s_and_b32 s28, s26, exec_lo
	s_or_b32 s25, s25, s28
	s_andn2_b32 exec_lo, exec_lo, s24
	s_cbranch_execz .LBB0_49
.LBB0_45:                               ;   Parent Loop BB0_21 Depth=1
                                        ; =>  This Inner Loop Header: Depth=2
	s_add_i32 s27, s27, 1
	s_cmpk_lg_i32 s27, 0x2710
	s_cselect_b32 s28, -1, 0
	s_and_b32 vcc_lo, exec_lo, s28
	s_cbranch_vccz .LBB0_47
; %bb.46:                               ;   in Loop: Header=BB0_45 Depth=2
	s_mov_b32 s40, -1
	s_or_b32 s26, s26, exec_lo
	s_and_saveexec_b32 s29, s28
	s_cbranch_execz .LBB0_44
	s_branch .LBB0_48
	.p2align	6
.LBB0_47:                               ;   in Loop: Header=BB0_45 Depth=2
	s_trap 2
	ds_read_b64 v[17:18], v0
	s_andn2_b32 s28, s28, exec_lo
	s_mov_b32 s27, 0
	s_waitcnt lgkmcnt(0)
	flat_load_dword v17, v[17:18] glc dlc
	s_waitcnt vmcnt(0) lgkmcnt(0)
	buffer_gl1_inv
	buffer_gl0_inv
	v_cmp_eq_u32_e32 vcc_lo, 0, v17
	s_and_b32 s29, vcc_lo, exec_lo
	s_or_b32 s28, s28, s29
	s_mov_b32 s40, -1
	s_or_b32 s26, s26, exec_lo
	s_and_saveexec_b32 s29, s28
	s_cbranch_execz .LBB0_44
.LBB0_48:                               ;   in Loop: Header=BB0_45 Depth=2
	s_sleep 1
	s_trap 2
	ds_read_b64 v[17:18], v0
	s_waitcnt lgkmcnt(0)
	buffer_gl0_inv
	s_andn2_b32 s26, s26, exec_lo
	v_cmp_ge_u64_e32 vcc_lo, v[17:18], v[2:3]
	s_orn2_b32 s40, vcc_lo, exec_lo
	s_branch .LBB0_44
.LBB0_49:                               ;   in Loop: Header=BB0_21 Depth=1
	s_inst_prefetch 0x2
	s_or_b32 exec_lo, exec_lo, s24
	s_and_saveexec_b32 s24, s25
	s_xor_b32 s24, exec_lo, s24
	s_cbranch_execz .LBB0_51
; %bb.50:                               ;   in Loop: Header=BB0_21 Depth=1
	ds_write_b32 v0, v118
	s_trap 2
.LBB0_51:                               ;   in Loop: Header=BB0_21 Depth=1
	s_or_b32 exec_lo, exec_lo, s23
	;;#ASMSTART
	s_wakeup
	;;#ASMEND
.LBB0_52:                               ;   in Loop: Header=BB0_21 Depth=1
	s_or_b32 exec_lo, exec_lo, s22
.LBB0_53:                               ;   in Loop: Header=BB0_21 Depth=1
	s_andn2_saveexec_b32 s12, s12
	s_cbranch_execz .LBB0_55
; %bb.54:                               ;   in Loop: Header=BB0_21 Depth=1
	s_waitcnt vmcnt(0) lgkmcnt(0)
	s_waitcnt_vscnt null, 0x0
	buffer_gl1_inv
	buffer_gl0_inv
	s_barrier
.LBB0_55:                               ;   in Loop: Header=BB0_21 Depth=1
	s_or_b32 exec_lo, exec_lo, s12
.LBB0_56:                               ;   in Loop: Header=BB0_21 Depth=1
	s_or_b32 exec_lo, exec_lo, s11
	v_sub_nc_u32_e32 v45, v20, v101
	v_and_b32_e32 v71, 7, v21
	v_add_nc_u32_e32 v18, 1, v21
	v_mov_b32_e32 v70, v4
	v_cmp_lt_i32_e64 s11, 0, v45
	s_and_saveexec_b32 s22, s11
	s_cbranch_execz .LBB0_64
; %bb.57:                               ;   in Loop: Header=BB0_21 Depth=1
	s_waitcnt vmcnt(0) lgkmcnt(0)
	v_ashrrev_i32_e32 v17, 31, v19
	v_mul_lo_u32 v82, v71, s18
	v_mad_u64_u32 v[80:81], null, v98, v19, v[5:6]
	v_mul_lo_u32 v20, v99, v19
	v_mul_lo_u32 v17, v98, v17
	v_mov_b32_e32 v85, v45
	v_mov_b32_e32 v70, v4
	s_mov_b32 s23, 0
	v_ashrrev_i32_e32 v83, 31, v82
	v_add3_u32 v81, v20, v81, v17
	v_mul_lo_u32 v17, v98, v19
	v_lshlrev_b64 v[19:20], 4, v[82:83]
	v_add_co_u32 v82, vcc_lo, v116, v19
	v_add_lshl_u32 v84, v5, v17, 3
	v_add_co_ci_u32_e64 v83, null, v117, v20, vcc_lo
	s_inst_prefetch 0x1
	s_branch .LBB0_59
	.p2align	6
.LBB0_58:                               ;   in Loop: Header=BB0_59 Depth=2
	s_or_b32 exec_lo, exec_lo, s12
	s_waitcnt vmcnt(0)
	v_alignbit_b32 v17, v87, v17, v84
	v_alignbit_b32 v19, v86, v87, v84
	v_mov_b32_e32 v20, v18
	v_sub_nc_u32_e32 v85, v85, v102
	v_add_co_u32 v80, vcc_lo, v80, v102
	v_add_co_ci_u32_e64 v81, null, 0, v81, vcc_lo
	global_store_dwordx4 v[82:83], v[17:20], off
	v_cmp_gt_i32_e32 vcc_lo, 1, v85
	v_add_co_u32 v82, s12, v82, v9
	v_add_nc_u32_e32 v70, v70, v1
	v_add_nc_u32_e32 v84, v84, v115
	v_add_co_ci_u32_e64 v83, null, v83, v10, s12
	s_or_b32 s23, vcc_lo, s23
	s_andn2_b32 exec_lo, exec_lo, s23
	s_cbranch_execz .LBB0_63
.LBB0_59:                               ;   Parent Loop BB0_21 Depth=1
                                        ; =>  This Inner Loop Header: Depth=2
	v_and_b32_e32 v19, -4, v80
	v_mov_b32_e32 v20, v81
	v_min_u32_e32 v52, 8, v85
	v_and_b32_e32 v86, 3, v80
	v_mov_b32_e32 v87, 0
	s_mov_b32 s12, exec_lo
	global_load_dword v17, v[19:20], off slc
	v_add_nc_u32_e32 v52, v86, v52
	v_mov_b32_e32 v86, 0
	v_cmpx_lt_u32_e32 4, v52
	s_cbranch_execz .LBB0_61
; %bb.60:                               ;   in Loop: Header=BB0_59 Depth=2
	global_load_dword v87, v[19:20], off offset:4 slc
.LBB0_61:                               ;   in Loop: Header=BB0_59 Depth=2
	s_or_b32 exec_lo, exec_lo, s12
	s_mov_b32 s12, exec_lo
	v_cmpx_lt_u64_e32 8, v[52:53]
	s_cbranch_execz .LBB0_58
; %bb.62:                               ;   in Loop: Header=BB0_59 Depth=2
	global_load_dword v86, v[19:20], off offset:8 slc
	s_branch .LBB0_58
.LBB0_63:                               ;   in Loop: Header=BB0_21 Depth=1
	s_inst_prefetch 0x2
	s_or_b32 exec_lo, exec_lo, s23
.LBB0_64:                               ;   in Loop: Header=BB0_21 Depth=1
	s_or_b32 exec_lo, exec_lo, s22
	v_and_b32_e32 v52, 0x7ffffff8, v21
	v_cmp_gt_i32_e64 s12, s18, v70
	v_cmp_eq_u64_e32 vcc_lo, 0x7ffffff8, v[52:53]
	s_and_b32 s12, vcc_lo, s12
	s_and_saveexec_b32 s22, s12
	s_cbranch_execz .LBB0_67
; %bb.65:                               ;   in Loop: Header=BB0_21 Depth=1
	s_waitcnt vmcnt(0) lgkmcnt(0)
	v_mul_lo_u32 v19, v71, s18
	v_ashrrev_i32_e32 v71, 31, v70
	v_mov_b32_e32 v17, v53
	s_mov_b32 s23, 0
	v_lshlrev_b64 v[80:81], 4, v[70:71]
	v_ashrrev_i32_e32 v20, 31, v19
	v_lshlrev_b64 v[19:20], 4, v[19:20]
	v_add_co_u32 v19, vcc_lo, v80, v19
	v_add_co_ci_u32_e64 v20, null, v81, v20, vcc_lo
	v_add_co_u32 v80, vcc_lo, v36, v19
	v_add_co_ci_u32_e64 v81, null, v37, v20, vcc_lo
.LBB0_66:                               ;   Parent Loop BB0_21 Depth=1
                                        ; =>  This Inner Loop Header: Depth=2
	v_mov_b32_e32 v19, v17
	v_add_nc_u32_e32 v70, v70, v1
	v_mov_b32_e32 v20, v18
	v_cmp_le_i32_e32 vcc_lo, s18, v70
	global_store_dwordx4 v[80:81], v[17:20], off
	v_add_co_u32 v80, s12, v80, v9
	v_add_co_ci_u32_e64 v81, null, v81, v10, s12
	s_or_b32 s23, vcc_lo, s23
	s_andn2_b32 exec_lo, exec_lo, s23
	s_cbranch_execnz .LBB0_66
.LBB0_67:                               ;   in Loop: Header=BB0_21 Depth=1
	s_or_b32 exec_lo, exec_lo, s22
	v_add_co_u32 v47, vcc_lo, v68, v25
	v_add_co_ci_u32_e64 v56, null, v69, v26, vcc_lo
	v_add_co_u32 v70, vcc_lo, v21, 1
	v_add_co_ci_u32_e64 v71, null, 0, v22, vcc_lo
	s_andn2_b32 vcc_lo, exec_lo, s21
	s_cbranch_vccnz .LBB0_501
; %bb.68:                               ;   in Loop: Header=BB0_21 Depth=1
	v_add_co_u32 v80, vcc_lo, v103, v47
	v_add_co_ci_u32_e64 v81, null, v112, v56, vcc_lo
	v_add_nc_u16 v57, v21, 1
	s_mov_b32 s22, 2
	s_branch .LBB0_70
.LBB0_69:                               ;   in Loop: Header=BB0_70 Depth=2
	s_or_b32 exec_lo, exec_lo, s23
	v_add_co_u32 v34, vcc_lo, v34, 1
	v_add_co_ci_u32_e64 v35, null, 0, v35, vcc_lo
	v_add_co_u32 v70, vcc_lo, v70, 1
	v_add_co_ci_u32_e64 v71, null, 0, v71, vcc_lo
	v_add_nc_u16 v57, v57, 1
	s_add_i32 s22, s22, 1
	s_cmp_eq_u32 s22, s14
	s_cbranch_scc1 .LBB0_501
.LBB0_70:                               ;   Parent Loop BB0_21 Depth=1
                                        ; =>  This Loop Header: Depth=2
                                        ;       Child Loop BB0_75 Depth 3
                                        ;       Child Loop BB0_94 Depth 3
	;; [unrolled: 1-line block ×3, first 2 shown]
                                        ;         Child Loop BB0_118 Depth 4
                                        ;       Child Loop BB0_484 Depth 3
                                        ;       Child Loop BB0_493 Depth 3
	s_sub_i32 s12, s14, s22
	s_lshl_b64 s[24:25], s[12:13], 2
	v_add_co_u32 v17, vcc_lo, v23, s24
	v_add_co_ci_u32_e64 v18, null, s25, v24, vcc_lo
	s_waitcnt vmcnt(0) lgkmcnt(0)
	flat_load_dword v19, v[17:18]
	s_and_saveexec_b32 s23, s5
	s_cbranch_execz .LBB0_86
; %bb.71:                               ;   in Loop: Header=BB0_70 Depth=2
	v_add_co_u32 v17, vcc_lo, v15, 1
	v_add_co_ci_u32_e64 v18, null, 0, v16, vcc_lo
	v_add_co_u32 v20, vcc_lo, v54, 8
	v_add_co_ci_u32_e64 v21, null, 0, v55, vcc_lo
	s_mov_b32 s24, exec_lo
	v_cmpx_lt_u64_e64 v[20:21], v[17:18]
	s_cbranch_execz .LBB0_83
; %bb.72:                               ;   in Loop: Header=BB0_70 Depth=2
	s_mov_b32 s25, 0
	s_mov_b32 s29, 0
	v_cmp_eq_u32_e32 vcc_lo, 0, v44
                                        ; implicit-def: $sgpr26
                                        ; implicit-def: $sgpr27
                                        ; implicit-def: $sgpr28
	s_branch .LBB0_75
.LBB0_73:                               ;   in Loop: Header=BB0_75 Depth=3
	s_or_b32 exec_lo, exec_lo, s44
	s_andn2_b32 s12, s28, exec_lo
	s_and_b32 s28, s42, exec_lo
	s_andn2_b32 s27, s27, exec_lo
	s_and_b32 s41, s41, exec_lo
	s_or_b32 s28, s12, s28
	s_or_b32 s27, s27, s41
.LBB0_74:                               ;   in Loop: Header=BB0_75 Depth=3
	s_or_b32 exec_lo, exec_lo, s40
	s_and_b32 s12, exec_lo, s27
	s_or_b32 s25, s12, s25
	s_andn2_b32 s12, s26, exec_lo
	s_and_b32 s26, s28, exec_lo
	s_or_b32 s26, s12, s26
	s_andn2_b32 exec_lo, exec_lo, s25
	s_cbranch_execz .LBB0_80
.LBB0_75:                               ;   Parent Loop BB0_21 Depth=1
                                        ;     Parent Loop BB0_70 Depth=2
                                        ; =>    This Inner Loop Header: Depth=3
	s_sleep 1
	s_waitcnt vmcnt(0) lgkmcnt(0)
	flat_load_dwordx2 v[54:55], v[50:51] glc dlc
	v_mov_b32_e32 v44, 1
	s_or_b32 s28, s28, exec_lo
	s_or_b32 s27, s27, exec_lo
                                        ; implicit-def: $vgpr16
	s_and_saveexec_b32 s40, vcc_lo
	s_cbranch_execz .LBB0_74
; %bb.76:                               ;   in Loop: Header=BB0_75 Depth=3
	s_add_i32 s29, s29, 1
	s_mov_b32 s41, -1
	s_cmpk_lg_i32 s29, 0x2710
	s_mov_b32 s42, -1
	s_cselect_b32 s43, -1, 0
	s_cmpk_eq_i32 s29, 0x2710
                                        ; implicit-def: $vgpr16
	s_cbranch_scc1 .LBB0_78
; %bb.77:                               ;   in Loop: Header=BB0_75 Depth=3
	v_mov_b32_e32 v44, 1
	s_and_saveexec_b32 s44, s43
	s_cbranch_execz .LBB0_73
	s_branch .LBB0_79
.LBB0_78:                               ;   in Loop: Header=BB0_75 Depth=3
	s_trap 2
	ds_read_b64 v[20:21], v0
	s_andn2_b32 s29, s43, exec_lo
	s_mov_b32 s42, 0
	s_waitcnt vmcnt(0) lgkmcnt(0)
	s_waitcnt_vscnt null, 0x0
	flat_load_dword v16, v[20:21] glc dlc
	s_waitcnt vmcnt(0) lgkmcnt(0)
	buffer_gl1_inv
	buffer_gl0_inv
	v_cmp_eq_u32_e64 s12, 0, v16
	s_and_b32 s12, s12, exec_lo
	s_or_b32 s43, s29, s12
	s_mov_b32 s29, 0
	v_mov_b32_e32 v44, 1
	s_and_saveexec_b32 s44, s43
	s_cbranch_execz .LBB0_73
.LBB0_79:                               ;   in Loop: Header=BB0_75 Depth=3
	s_waitcnt vmcnt(0) lgkmcnt(0)
	v_add_co_u32 v20, s12, v54, 8
	v_add_co_ci_u32_e64 v21, null, 0, v55, s12
	v_mov_b32_e32 v44, 0
	s_or_b32 s42, s42, exec_lo
	v_cmp_ge_u64_e64 s12, v[20:21], v[17:18]
	s_orn2_b32 s41, s12, exec_lo
	s_branch .LBB0_73
.LBB0_80:                               ;   in Loop: Header=BB0_70 Depth=2
	s_or_b32 exec_lo, exec_lo, s25
	s_xor_b32 s12, s26, -1
	s_and_saveexec_b32 s25, s12
	s_xor_b32 s12, exec_lo, s25
	s_cbranch_execz .LBB0_82
; %bb.81:                               ;   in Loop: Header=BB0_70 Depth=2
	v_mov_b32_e32 v44, 1
	s_waitcnt vmcnt(0) lgkmcnt(0)
	s_waitcnt_vscnt null, 0x0
	ds_write_b32 v0, v16
	s_trap 2
.LBB0_82:                               ;   in Loop: Header=BB0_70 Depth=2
	s_or_b32 exec_lo, exec_lo, s12
.LBB0_83:                               ;   in Loop: Header=BB0_70 Depth=2
	s_or_b32 exec_lo, exec_lo, s24
	s_and_saveexec_b32 s12, s6
	s_cbranch_execz .LBB0_85
; %bb.84:                               ;   in Loop: Header=BB0_70 Depth=2
	v_and_b32_e32 v52, 0x7ffffff8, v15
	v_and_b32_e32 v16, 7, v15
	v_cmp_eq_u64_e32 vcc_lo, 0x7ffffff8, v[52:53]
	v_mad_u64_u32 v[20:21], null, v16, 24, v[13:14]
	v_cndmask_b32_e64 v15, v46, s15, vcc_lo
	v_ashrrev_i32_e32 v16, 31, v15
	flat_store_dwordx2 v[20:21], v[15:16] offset:8
	s_waitcnt_vscnt null, 0x0
.LBB0_85:                               ;   in Loop: Header=BB0_70 Depth=2
	s_or_b32 exec_lo, exec_lo, s12
	v_mov_b32_e32 v15, v17
	v_mov_b32_e32 v16, v18
.LBB0_86:                               ;   in Loop: Header=BB0_70 Depth=2
	s_or_b32 exec_lo, exec_lo, s23
	s_and_saveexec_b32 s12, s7
	s_cbranch_execz .LBB0_105
; %bb.87:                               ;   in Loop: Header=BB0_70 Depth=2
	s_and_saveexec_b32 s23, s19
	s_xor_b32 s23, exec_lo, s23
	s_cbranch_execz .LBB0_102
; %bb.88:                               ;   in Loop: Header=BB0_70 Depth=2
	s_and_saveexec_b32 s24, s8
	s_cbranch_execz .LBB0_101
; %bb.89:                               ;   in Loop: Header=BB0_70 Depth=2
	s_mov_b32 s26, exec_lo
	s_mov_b32 s25, exec_lo
	v_mbcnt_lo_u32_b32 v17, s26, 0
	s_waitcnt vmcnt(0) lgkmcnt(0)
	s_waitcnt_vscnt null, 0x0
	buffer_gl1_inv
	buffer_gl0_inv
	v_cmpx_eq_u32_e32 0, v17
	s_cbranch_execz .LBB0_91
; %bb.90:                               ;   in Loop: Header=BB0_70 Depth=2
	s_bcnt1_i32_b32 s26, s26
	v_mov_b32_e32 v52, s26
	ds_add_u64 v0, v[52:53]
	s_trap 2
.LBB0_91:                               ;   in Loop: Header=BB0_70 Depth=2
	s_or_b32 exec_lo, exec_lo, s25
	s_trap 2
	ds_read_b64 v[17:18], v0
	s_waitcnt lgkmcnt(0)
	buffer_gl0_inv
	v_add_co_u32 v2, vcc_lo, v2, v100
	v_add_co_ci_u32_e64 v3, null, 0, v3, vcc_lo
	s_mov_b32 s25, exec_lo
	v_cmpx_lt_u64_e64 v[17:18], v[2:3]
	s_cbranch_execz .LBB0_100
; %bb.92:                               ;   in Loop: Header=BB0_70 Depth=2
	s_mov_b32 s26, 0
	s_mov_b32 s29, 0
                                        ; implicit-def: $sgpr27
                                        ; implicit-def: $sgpr28
	s_inst_prefetch 0x1
	s_branch .LBB0_94
	.p2align	6
.LBB0_93:                               ;   in Loop: Header=BB0_94 Depth=3
	s_or_b32 exec_lo, exec_lo, s41
	s_and_b32 s40, exec_lo, s42
	s_or_b32 s26, s40, s26
	s_andn2_b32 s27, s27, exec_lo
	s_and_b32 s40, s28, exec_lo
	s_or_b32 s27, s27, s40
	s_andn2_b32 exec_lo, exec_lo, s26
	s_cbranch_execz .LBB0_98
.LBB0_94:                               ;   Parent Loop BB0_21 Depth=1
                                        ;     Parent Loop BB0_70 Depth=2
                                        ; =>    This Inner Loop Header: Depth=3
	s_add_i32 s29, s29, 1
	s_cmpk_lg_i32 s29, 0x2710
	s_cselect_b32 s40, -1, 0
	s_and_b32 vcc_lo, exec_lo, s40
	s_cbranch_vccz .LBB0_96
; %bb.95:                               ;   in Loop: Header=BB0_94 Depth=3
	s_mov_b32 s42, -1
	s_or_b32 s28, s28, exec_lo
	s_and_saveexec_b32 s41, s40
	s_cbranch_execz .LBB0_93
	s_branch .LBB0_97
	.p2align	6
.LBB0_96:                               ;   in Loop: Header=BB0_94 Depth=3
	s_trap 2
	ds_read_b64 v[17:18], v0
	s_andn2_b32 s40, s40, exec_lo
	s_mov_b32 s29, 0
	s_waitcnt lgkmcnt(0)
	flat_load_dword v17, v[17:18] glc dlc
	s_waitcnt vmcnt(0) lgkmcnt(0)
	buffer_gl1_inv
	buffer_gl0_inv
	v_cmp_eq_u32_e32 vcc_lo, 0, v17
	s_and_b32 s41, vcc_lo, exec_lo
	s_or_b32 s40, s40, s41
	s_mov_b32 s42, -1
	s_or_b32 s28, s28, exec_lo
	s_and_saveexec_b32 s41, s40
	s_cbranch_execz .LBB0_93
.LBB0_97:                               ;   in Loop: Header=BB0_94 Depth=3
	s_sleep 1
	s_trap 2
	ds_read_b64 v[17:18], v0
	s_waitcnt lgkmcnt(0)
	buffer_gl0_inv
	s_andn2_b32 s28, s28, exec_lo
	v_cmp_ge_u64_e32 vcc_lo, v[17:18], v[2:3]
	s_orn2_b32 s42, vcc_lo, exec_lo
	s_branch .LBB0_93
.LBB0_98:                               ;   in Loop: Header=BB0_70 Depth=2
	s_inst_prefetch 0x2
	s_or_b32 exec_lo, exec_lo, s26
	s_and_saveexec_b32 s26, s27
	s_xor_b32 s26, exec_lo, s26
	s_cbranch_execz .LBB0_100
; %bb.99:                               ;   in Loop: Header=BB0_70 Depth=2
	ds_write_b32 v0, v118
	s_trap 2
.LBB0_100:                              ;   in Loop: Header=BB0_70 Depth=2
	s_or_b32 exec_lo, exec_lo, s25
	;;#ASMSTART
	s_wakeup
	;;#ASMEND
.LBB0_101:                              ;   in Loop: Header=BB0_70 Depth=2
	s_or_b32 exec_lo, exec_lo, s24
.LBB0_102:                              ;   in Loop: Header=BB0_70 Depth=2
	s_andn2_saveexec_b32 s23, s23
	s_cbranch_execz .LBB0_104
; %bb.103:                              ;   in Loop: Header=BB0_70 Depth=2
	s_waitcnt vmcnt(0) lgkmcnt(0)
	s_waitcnt_vscnt null, 0x0
	buffer_gl1_inv
	buffer_gl0_inv
	s_barrier
.LBB0_104:                              ;   in Loop: Header=BB0_70 Depth=2
	s_or_b32 exec_lo, exec_lo, s23
.LBB0_105:                              ;   in Loop: Header=BB0_70 Depth=2
	s_or_b32 exec_lo, exec_lo, s12
	v_add_nc_u32_e32 v18, 1, v70
	v_mov_b32_e32 v82, v4
	s_and_saveexec_b32 s23, s11
	s_cbranch_execz .LBB0_476
; %bb.106:                              ;   in Loop: Header=BB0_70 Depth=2
	v_and_b32_e32 v17, 7, v34
	v_and_b32_e32 v21, 7, v70
	s_waitcnt vmcnt(0) lgkmcnt(0)
	v_mad_u64_u32 v[84:85], null, v98, v19, v[80:81]
	v_mul_lo_u32 v22, v99, v19
	v_mul_lo_u32 v20, v17, s18
	v_ashrrev_i32_e32 v17, 31, v19
	v_mul_lo_u32 v82, v21, s18
	v_add_nc_u32_e32 v58, 1, v34
	v_mov_b32_e32 v59, v45
	s_mov_b32 s24, 0
	v_mul_lo_u32 v17, v98, v17
	v_ashrrev_i32_e32 v21, 31, v20
	v_ashrrev_i32_e32 v83, 31, v82
	v_lshlrev_b64 v[19:20], 4, v[20:21]
	v_add3_u32 v85, v22, v85, v17
	v_lshlrev_b64 v[21:22], 4, v[82:83]
	v_mov_b32_e32 v82, v4
	v_add_co_u32 v60, vcc_lo, v32, v19
	v_add_co_ci_u32_e64 v61, null, v33, v20, vcc_lo
	v_add_co_u32 v62, vcc_lo, v36, v21
	v_add_co_ci_u32_e64 v63, null, v37, v22, vcc_lo
	s_branch .LBB0_110
.LBB0_107:                              ;   in Loop: Header=BB0_110 Depth=3
	s_or_b32 exec_lo, exec_lo, s12
	v_lshrrev_b32_e32 v22, 21, v22
	v_min_i32_e32 v83, 31, v21
	v_cmp_gt_i32_e32 vcc_lo, 32, v21
	v_and_b32_sdwa v73, v73, v40 dst_sel:DWORD dst_unused:UNUSED_PAD src0_sel:BYTE_3 src1_sel:DWORD
	v_lshlrev_b32_e32 v83, 2, v83
	v_cndmask_b32_e32 v22, 3, v22, vcc_lo
	v_and_b32_e32 v83, 0xfc, v83
	v_and_b32_e32 v74, 3, v22
	v_or_b32_e32 v21, v21, v22
	v_or3_b32 v83, v73, v83, v74
	v_cmp_ne_u32_e32 vcc_lo, 0, v21
	v_lshlrev_b32_e32 v22, 8, v83
	v_cndmask_b32_e32 v21, 0, v22, vcc_lo
.LBB0_108:                              ;   in Loop: Header=BB0_110 Depth=3
	s_or_b32 exec_lo, exec_lo, s26
.LBB0_109:                              ;   in Loop: Header=BB0_110 Depth=3
	s_or_b32 exec_lo, exec_lo, s25
	v_sub_nc_u32_e32 v59, v59, v102
	v_add_co_u32 v84, vcc_lo, v84, v102
	v_or_b32_e32 v17, v20, v17
	v_or_b32_sdwa v19, v19, v52 dst_sel:WORD_1 dst_unused:UNUSED_PAD src0_sel:DWORD src1_sel:DWORD
	v_or_b32_e32 v20, v97, v96
	v_or_b32_sdwa v52, v21, v72 dst_sel:WORD_1 dst_unused:UNUSED_PAD src0_sel:DWORD src1_sel:DWORD
	v_add_co_ci_u32_e64 v85, null, 0, v85, vcc_lo
	v_add_co_u32 v21, vcc_lo, v62, v86
	v_add_co_ci_u32_e64 v22, null, v63, v87, vcc_lo
	v_cmp_gt_i32_e32 vcc_lo, 1, v59
	v_or3_b32 v17, v17, v19, 0
	v_or3_b32 v19, v20, v52, 0
	v_mov_b32_e32 v20, v18
	v_add_nc_u32_e32 v82, v82, v1
	s_or_b32 s24, vcc_lo, s24
	global_store_dwordx4 v[21:22], v[17:20], off
	s_andn2_b32 exec_lo, exec_lo, s24
	s_cbranch_execz .LBB0_488
.LBB0_110:                              ;   Parent Loop BB0_21 Depth=1
                                        ;     Parent Loop BB0_70 Depth=2
                                        ; =>    This Loop Header: Depth=3
                                        ;         Child Loop BB0_118 Depth 4
	v_and_b32_e32 v19, -4, v84
	v_mov_b32_e32 v20, v85
	v_min_u32_e32 v21, 8, v59
	v_and_b32_e32 v22, 3, v84
	v_mov_b32_e32 v72, 0
	v_mov_b32_e32 v73, 0
	global_load_dword v17, v[19:20], off slc
	s_mov_b32 s12, exec_lo
	v_add_nc_u32_e32 v52, v22, v21
	v_cmpx_lt_u32_e32 4, v52
	s_cbranch_execz .LBB0_112
; %bb.111:                              ;   in Loop: Header=BB0_110 Depth=3
	global_load_dword v73, v[19:20], off offset:4 slc
.LBB0_112:                              ;   in Loop: Header=BB0_110 Depth=3
	s_or_b32 exec_lo, exec_lo, s12
	s_mov_b32 s12, exec_lo
	v_cmpx_lt_u64_e32 8, v[52:53]
	s_cbranch_execz .LBB0_114
; %bb.113:                              ;   in Loop: Header=BB0_110 Depth=3
	global_load_dword v72, v[19:20], off offset:8 slc
.LBB0_114:                              ;   in Loop: Header=BB0_110 Depth=3
	s_or_b32 exec_lo, exec_lo, s12
	v_mov_b32_e32 v83, v53
	v_lshlrev_b64 v[86:87], 4, v[82:83]
	v_add_co_u32 v96, vcc_lo, v60, v86
	v_add_co_ci_u32_e64 v97, null, v61, v87, vcc_lo
	v_cmp_eq_u32_e32 vcc_lo, 0, v44
	v_mov_b32_e32 v44, 1
	global_load_dwordx4 v[19:22], v[96:97], off slc
	s_and_saveexec_b32 s25, vcc_lo
	s_cbranch_execz .LBB0_126
; %bb.115:                              ;   in Loop: Header=BB0_110 Depth=3
	s_waitcnt vmcnt(0)
	v_cmp_ne_u32_e32 vcc_lo, v58, v20
	v_cmp_ne_u32_e64 s12, v58, v22
	v_mov_b32_e32 v44, 0
	s_or_b32 s12, vcc_lo, s12
	s_and_saveexec_b32 s26, s12
	s_cbranch_execz .LBB0_125
; %bb.116:                              ;   in Loop: Header=BB0_110 Depth=3
	s_mov_b32 s40, 1
	s_mov_b32 s28, 0
                                        ; implicit-def: $sgpr27
                                        ; implicit-def: $sgpr29
	s_inst_prefetch 0x1
	s_branch .LBB0_118
	.p2align	6
.LBB0_117:                              ;   in Loop: Header=BB0_118 Depth=4
	s_or_b32 exec_lo, exec_lo, s42
	s_and_b32 s12, exec_lo, s12
	s_or_b32 s28, s12, s28
	s_andn2_b32 s12, s27, exec_lo
	s_and_b32 s27, s29, exec_lo
	s_or_b32 s27, s12, s27
	s_andn2_b32 exec_lo, exec_lo, s28
	s_cbranch_execz .LBB0_122
.LBB0_118:                              ;   Parent Loop BB0_21 Depth=1
                                        ;     Parent Loop BB0_70 Depth=2
                                        ;       Parent Loop BB0_110 Depth=3
                                        ; =>      This Inner Loop Header: Depth=4
	global_load_dwordx4 v[19:22], v[96:97], off slc
	s_add_i32 s40, s40, 1
	s_mov_b32 s12, -1
	s_cmpk_lg_i32 s40, 0x2710
	s_mov_b32 s41, -1
                                        ; implicit-def: $vgpr52
	s_cbranch_scc0 .LBB0_120
; %bb.119:                              ;   in Loop: Header=BB0_118 Depth=4
	s_or_b32 s29, s29, exec_lo
	s_and_saveexec_b32 s42, s41
	s_cbranch_execz .LBB0_117
	s_branch .LBB0_121
	.p2align	6
.LBB0_120:                              ;   in Loop: Header=BB0_118 Depth=4
	s_trap 2
	ds_read_b64 v[74:75], v0
	s_mov_b32 s40, 0
	s_waitcnt vmcnt(0) lgkmcnt(0)
	s_waitcnt_vscnt null, 0x0
	flat_load_dword v52, v[74:75] glc dlc
	s_waitcnt vmcnt(0) lgkmcnt(0)
	buffer_gl1_inv
	buffer_gl0_inv
	v_cmp_eq_u32_e32 vcc_lo, 0, v52
	s_orn2_b32 s41, vcc_lo, exec_lo
	s_or_b32 s29, s29, exec_lo
	s_and_saveexec_b32 s42, s41
	s_cbranch_execz .LBB0_117
.LBB0_121:                              ;   in Loop: Header=BB0_118 Depth=4
	s_waitcnt vmcnt(0)
	v_cmp_eq_u32_e32 vcc_lo, v58, v20
	v_cmp_eq_u32_e64 s12, v58, v22
	s_andn2_b32 s29, s29, exec_lo
	s_and_b32 s12, vcc_lo, s12
	s_orn2_b32 s12, s12, exec_lo
	s_branch .LBB0_117
.LBB0_122:                              ;   in Loop: Header=BB0_110 Depth=3
	s_inst_prefetch 0x2
	s_or_b32 exec_lo, exec_lo, s28
	v_mov_b32_e32 v44, 0
	s_and_saveexec_b32 s12, s27
	s_xor_b32 s12, exec_lo, s12
	s_cbranch_execz .LBB0_124
; %bb.123:                              ;   in Loop: Header=BB0_110 Depth=3
	v_mov_b32_e32 v44, 1
	s_waitcnt vmcnt(0)
	s_waitcnt_vscnt null, 0x0
	ds_write_b32 v0, v52
	s_trap 2
.LBB0_124:                              ;   in Loop: Header=BB0_110 Depth=3
	s_or_b32 exec_lo, exec_lo, s12
.LBB0_125:                              ;   in Loop: Header=BB0_110 Depth=3
	s_or_b32 exec_lo, exec_lo, s26
.LBB0_126:                              ;   in Loop: Header=BB0_110 Depth=3
	s_or_b32 exec_lo, exec_lo, s25
	s_waitcnt vmcnt(0)
	v_lshlrev_b32_e32 v22, 3, v84
                                        ; implicit-def: $vgpr20
	v_alignbit_b32 v83, v73, v17, v22
	s_and_saveexec_b32 s12, s9
	s_xor_b32 s12, exec_lo, s12
	s_cbranch_execz .LBB0_140
; %bb.127:                              ;   in Loop: Header=BB0_110 Depth=3
	v_cmp_gt_i16_sdwa s26, v19, v119 src0_sel:BYTE_0 src1_sel:DWORD
	s_mov_b32 s25, 0
	s_and_saveexec_b32 s27, s26
	s_xor_b32 s26, exec_lo, s27
	s_cbranch_execz .LBB0_412
; %bb.128:                              ;   in Loop: Header=BB0_110 Depth=3
	v_cmp_eq_u16_sdwa s28, v19, v40 src0_sel:BYTE_0 src1_sel:DWORD
	s_mov_b32 s25, -1
	s_and_saveexec_b32 s27, s28
; %bb.129:                              ;   in Loop: Header=BB0_110 Depth=3
	s_xor_b32 s25, exec_lo, -1
; %bb.130:                              ;   in Loop: Header=BB0_110 Depth=3
	s_or_b32 exec_lo, exec_lo, s27
	s_and_b32 s25, s25, exec_lo
	s_or_saveexec_b32 s26, s26
	v_mov_b32_e32 v17, 0x7f800001
	s_xor_b32 exec_lo, exec_lo, s26
	s_cbranch_execnz .LBB0_413
.LBB0_131:                              ;   in Loop: Header=BB0_110 Depth=3
	s_or_b32 exec_lo, exec_lo, s26
	s_and_saveexec_b32 s26, s25
	s_cbranch_execz .LBB0_133
.LBB0_132:                              ;   in Loop: Header=BB0_110 Depth=3
	v_and_b32_e32 v17, 3, v19
	v_bfe_u32 v96, v19, 2, 5
	v_lshlrev_b32_e32 v97, 24, v19
	v_ffbh_u32_e32 v20, v17
	v_cmp_eq_u32_e32 vcc_lo, 0, v96
	v_min_u32_e32 v20, 32, v20
	v_subrev_nc_u32_e32 v52, 29, v20
	v_sub_nc_u32_e32 v20, 30, v20
	v_lshlrev_b32_e32 v52, v52, v19
	v_cndmask_b32_e32 v20, v96, v20, vcc_lo
	v_and_b32_e32 v52, 3, v52
	v_lshl_add_u32 v20, v20, 23, 0x37800000
	v_cndmask_b32_e32 v17, v17, v52, vcc_lo
	v_and_b32_e32 v52, 0x80000000, v97
	v_lshlrev_b32_e32 v17, 21, v17
	v_or3_b32 v17, v52, v20, v17
.LBB0_133:                              ;   in Loop: Header=BB0_110 Depth=3
	s_or_b32 exec_lo, exec_lo, s26
	v_cmp_gt_i16_sdwa s26, v83, v119 src0_sel:BYTE_0 src1_sel:DWORD
	s_mov_b32 s25, 0
	s_and_saveexec_b32 s27, s26
	s_xor_b32 s26, exec_lo, s27
	s_cbranch_execz .LBB0_414
; %bb.134:                              ;   in Loop: Header=BB0_110 Depth=3
	v_cmp_eq_u16_sdwa s28, v83, v40 src0_sel:BYTE_0 src1_sel:DWORD
	s_mov_b32 s25, -1
	s_and_saveexec_b32 s27, s28
; %bb.135:                              ;   in Loop: Header=BB0_110 Depth=3
	s_xor_b32 s25, exec_lo, -1
; %bb.136:                              ;   in Loop: Header=BB0_110 Depth=3
	s_or_b32 exec_lo, exec_lo, s27
	s_and_b32 s25, s25, exec_lo
	s_or_saveexec_b32 s26, s26
	v_mov_b32_e32 v20, 0x7f800001
	s_xor_b32 exec_lo, exec_lo, s26
	s_cbranch_execnz .LBB0_415
.LBB0_137:                              ;   in Loop: Header=BB0_110 Depth=3
	s_or_b32 exec_lo, exec_lo, s26
	s_and_saveexec_b32 s26, s25
	s_cbranch_execz .LBB0_139
.LBB0_138:                              ;   in Loop: Header=BB0_110 Depth=3
	v_and_b32_e32 v20, 3, v83
	v_bfe_u32 v97, v83, 2, 5
	v_lshlrev_b32_e32 v74, 24, v83
	v_ffbh_u32_e32 v52, v20
	v_cmp_eq_u32_e32 vcc_lo, 0, v97
	v_min_u32_e32 v52, 32, v52
	v_subrev_nc_u32_e32 v96, 29, v52
	v_sub_nc_u32_e32 v52, 30, v52
	v_lshlrev_b32_e32 v96, v96, v83
	v_cndmask_b32_e32 v52, v97, v52, vcc_lo
	v_and_b32_e32 v96, 3, v96
	v_lshl_add_u32 v52, v52, 23, 0x37800000
	v_cndmask_b32_e32 v20, v20, v96, vcc_lo
	v_and_b32_e32 v96, 0x80000000, v74
	v_lshlrev_b32_e32 v20, 21, v20
	v_or3_b32 v20, v96, v52, v20
.LBB0_139:                              ;   in Loop: Header=BB0_110 Depth=3
	s_or_b32 exec_lo, exec_lo, s26
	v_max_f32_e32 v20, v20, v20
	v_max_f32_e32 v17, v17, v17
	;; [unrolled: 1-line block ×3, first 2 shown]
.LBB0_140:                              ;   in Loop: Header=BB0_110 Depth=3
	s_andn2_saveexec_b32 s12, s12
	s_cbranch_execz .LBB0_154
; %bb.141:                              ;   in Loop: Header=BB0_110 Depth=3
	v_cmp_gt_i16_sdwa s26, v19, v119 src0_sel:BYTE_0 src1_sel:DWORD
	s_mov_b32 s25, 0
	s_and_saveexec_b32 s27, s26
	s_xor_b32 s26, exec_lo, s27
	s_cbranch_execz .LBB0_416
; %bb.142:                              ;   in Loop: Header=BB0_110 Depth=3
	v_cmp_eq_u16_sdwa s28, v19, v40 src0_sel:BYTE_0 src1_sel:DWORD
	s_mov_b32 s25, -1
	s_and_saveexec_b32 s27, s28
; %bb.143:                              ;   in Loop: Header=BB0_110 Depth=3
	s_xor_b32 s25, exec_lo, -1
; %bb.144:                              ;   in Loop: Header=BB0_110 Depth=3
	s_or_b32 exec_lo, exec_lo, s27
	s_and_b32 s25, s25, exec_lo
	s_or_saveexec_b32 s26, s26
	v_mov_b32_e32 v17, 0x7f800001
	s_xor_b32 exec_lo, exec_lo, s26
	s_cbranch_execnz .LBB0_417
.LBB0_145:                              ;   in Loop: Header=BB0_110 Depth=3
	s_or_b32 exec_lo, exec_lo, s26
	s_and_saveexec_b32 s26, s25
	s_cbranch_execz .LBB0_147
.LBB0_146:                              ;   in Loop: Header=BB0_110 Depth=3
	v_and_b32_e32 v17, 3, v19
	v_bfe_u32 v96, v19, 2, 5
	v_lshlrev_b32_e32 v97, 24, v19
	v_ffbh_u32_e32 v20, v17
	v_cmp_eq_u32_e32 vcc_lo, 0, v96
	v_min_u32_e32 v20, 32, v20
	v_subrev_nc_u32_e32 v52, 29, v20
	v_sub_nc_u32_e32 v20, 30, v20
	v_lshlrev_b32_e32 v52, v52, v19
	v_cndmask_b32_e32 v20, v96, v20, vcc_lo
	v_and_b32_e32 v52, 3, v52
	v_lshl_add_u32 v20, v20, 23, 0x37800000
	v_cndmask_b32_e32 v17, v17, v52, vcc_lo
	v_and_b32_e32 v52, 0x80000000, v97
	v_lshlrev_b32_e32 v17, 21, v17
	v_or3_b32 v17, v52, v20, v17
.LBB0_147:                              ;   in Loop: Header=BB0_110 Depth=3
	s_or_b32 exec_lo, exec_lo, s26
	v_cmp_gt_i16_sdwa s26, v83, v119 src0_sel:BYTE_0 src1_sel:DWORD
	s_mov_b32 s25, 0
	s_and_saveexec_b32 s27, s26
	s_xor_b32 s26, exec_lo, s27
	s_cbranch_execz .LBB0_418
; %bb.148:                              ;   in Loop: Header=BB0_110 Depth=3
	v_cmp_eq_u16_sdwa s28, v83, v40 src0_sel:BYTE_0 src1_sel:DWORD
	s_mov_b32 s25, -1
	s_and_saveexec_b32 s27, s28
; %bb.149:                              ;   in Loop: Header=BB0_110 Depth=3
	s_xor_b32 s25, exec_lo, -1
; %bb.150:                              ;   in Loop: Header=BB0_110 Depth=3
	s_or_b32 exec_lo, exec_lo, s27
	s_and_b32 s25, s25, exec_lo
	s_or_saveexec_b32 s26, s26
	v_mov_b32_e32 v20, 0x7f800001
	s_xor_b32 exec_lo, exec_lo, s26
	s_cbranch_execnz .LBB0_419
.LBB0_151:                              ;   in Loop: Header=BB0_110 Depth=3
	s_or_b32 exec_lo, exec_lo, s26
	s_and_saveexec_b32 s26, s25
	s_cbranch_execz .LBB0_153
.LBB0_152:                              ;   in Loop: Header=BB0_110 Depth=3
	v_and_b32_e32 v20, 3, v83
	v_bfe_u32 v97, v83, 2, 5
	v_lshlrev_b32_e32 v74, 24, v83
	v_ffbh_u32_e32 v52, v20
	v_cmp_eq_u32_e32 vcc_lo, 0, v97
	v_min_u32_e32 v52, 32, v52
	v_subrev_nc_u32_e32 v96, 29, v52
	v_sub_nc_u32_e32 v52, 30, v52
	v_lshlrev_b32_e32 v96, v96, v83
	v_cndmask_b32_e32 v52, v97, v52, vcc_lo
	v_and_b32_e32 v96, 3, v96
	v_lshl_add_u32 v52, v52, 23, 0x37800000
	v_cndmask_b32_e32 v20, v20, v96, vcc_lo
	v_and_b32_e32 v96, 0x80000000, v74
	v_lshlrev_b32_e32 v20, 21, v20
	v_or3_b32 v20, v96, v52, v20
.LBB0_153:                              ;   in Loop: Header=BB0_110 Depth=3
	s_or_b32 exec_lo, exec_lo, s26
	v_max_f32_e32 v20, v20, v20
	v_max_f32_e32 v17, v17, v17
	v_min_f32_e32 v20, v17, v20
.LBB0_154:                              ;   in Loop: Header=BB0_110 Depth=3
	s_or_b32 exec_lo, exec_lo, s12
	v_and_b32_e32 v17, 0x7f800000, v20
	v_cmp_ne_u32_e32 vcc_lo, 0x7f800000, v17
	v_mov_b32_e32 v17, 0x80
	s_and_saveexec_b32 s25, vcc_lo
	s_cbranch_execz .LBB0_162
; %bb.155:                              ;   in Loop: Header=BB0_110 Depth=3
	v_mov_b32_e32 v17, 0
	s_mov_b32 s26, exec_lo
	v_cmpx_ne_u32_e32 0, v20
	s_cbranch_execz .LBB0_161
; %bb.156:                              ;   in Loop: Header=BB0_110 Depth=3
	v_bfe_u32 v17, v20, 23, 8
	v_and_b32_e32 v52, 0x7fffff, v20
	v_sub_nc_u32_e32 v96, 0x70, v17
	v_cmp_gt_u32_e32 vcc_lo, 0x71, v17
	v_or_b32_e32 v97, 0x800000, v52
	v_cndmask_b32_e32 v96, 0, v96, vcc_lo
	v_cmp_eq_u32_e32 vcc_lo, 0, v17
	v_add_nc_u32_e32 v17, 0xffffff91, v17
	v_cndmask_b32_e64 v96, v96, 0x6f, vcc_lo
	v_cndmask_b32_e32 v52, v97, v52, vcc_lo
	v_cndmask_b32_e64 v17, v17, 0xffffff92, vcc_lo
	v_lshl_add_u32 v97, 0x200000, v96, -1
	v_lshrrev_b32_e32 v74, v96, v52
	v_lshlrev_b32_e64 v76, v96, 0x100000
	v_add_nc_u32_e32 v96, v96, v17
	v_and_b32_e32 v52, v97, v52
	v_bfe_u32 v75, v74, 21, 1
	v_cmp_eq_u32_e64 s12, v52, v76
	v_add_nc_u32_e32 v97, -1, v75
	v_cndmask_b32_e64 v52, 0, v97, s12
	v_lshrrev_b32_e32 v97, 23, v74
	s_mov_b32 s12, exec_lo
	v_add_nc_u32_e32 v52, v52, v74
	v_xor_b32_e32 v97, 1, v97
	v_and_b32_e32 v17, 0x1fffff, v52
	v_add_nc_u32_e32 v52, v17, v74
                                        ; implicit-def: $vgpr17
	v_cmpx_ne_u32_e64 v96, v97
	s_xor_b32 s12, exec_lo, s12
; %bb.157:                              ;   in Loop: Header=BB0_110 Depth=3
	v_cmp_lt_u32_e32 vcc_lo, 0xffffff, v52
	v_sub_nc_u32_e32 v17, v96, v97
	v_cndmask_b32_e64 v96, 0, 1, vcc_lo
	v_add_co_ci_u32_e64 v17, null, 0, v17, vcc_lo
	v_lshrrev_b32_e32 v52, v96, v52
; %bb.158:                              ;   in Loop: Header=BB0_110 Depth=3
	s_andn2_saveexec_b32 s12, s12
; %bb.159:                              ;   in Loop: Header=BB0_110 Depth=3
	v_bfe_u32 v17, v52, 23, 1
; %bb.160:                              ;   in Loop: Header=BB0_110 Depth=3
	s_or_b32 exec_lo, exec_lo, s12
	v_lshrrev_b32_e32 v52, 21, v52
	v_min_i32_e32 v96, 31, v17
	v_cmp_gt_i32_e32 vcc_lo, 32, v17
	v_and_b32_sdwa v20, v20, v40 dst_sel:DWORD dst_unused:UNUSED_PAD src0_sel:BYTE_3 src1_sel:DWORD
	v_lshlrev_b32_e32 v96, 2, v96
	v_cndmask_b32_e32 v52, 3, v52, vcc_lo
	v_and_b32_e32 v96, 0xfc, v96
	v_and_b32_e32 v97, 3, v52
	v_or_b32_e32 v17, v17, v52
	v_or3_b32 v20, v96, v20, v97
	v_cmp_ne_u32_e32 vcc_lo, 0, v17
	v_cndmask_b32_e32 v17, 0, v20, vcc_lo
.LBB0_161:                              ;   in Loop: Header=BB0_110 Depth=3
	s_or_b32 exec_lo, exec_lo, s26
.LBB0_162:                              ;   in Loop: Header=BB0_110 Depth=3
	s_or_b32 exec_lo, exec_lo, s25
                                        ; implicit-def: $vgpr52
	s_and_saveexec_b32 s12, s9
	s_xor_b32 s12, exec_lo, s12
	s_cbranch_execz .LBB0_176
; %bb.163:                              ;   in Loop: Header=BB0_110 Depth=3
	v_cmp_gt_i16_sdwa s26, v19, v119 src0_sel:BYTE_1 src1_sel:DWORD
	s_mov_b32 s25, 0
	s_and_saveexec_b32 s27, s26
	s_xor_b32 s26, exec_lo, s27
	s_cbranch_execz .LBB0_420
; %bb.164:                              ;   in Loop: Header=BB0_110 Depth=3
	v_cmp_eq_u16_sdwa s28, v19, v40 src0_sel:BYTE_1 src1_sel:DWORD
	s_mov_b32 s25, -1
	s_and_saveexec_b32 s27, s28
; %bb.165:                              ;   in Loop: Header=BB0_110 Depth=3
	s_xor_b32 s25, exec_lo, -1
; %bb.166:                              ;   in Loop: Header=BB0_110 Depth=3
	s_or_b32 exec_lo, exec_lo, s27
	s_and_b32 s25, s25, exec_lo
	s_or_saveexec_b32 s26, s26
	v_mov_b32_e32 v20, 0x7f800001
	s_xor_b32 exec_lo, exec_lo, s26
	s_cbranch_execnz .LBB0_421
.LBB0_167:                              ;   in Loop: Header=BB0_110 Depth=3
	s_or_b32 exec_lo, exec_lo, s26
	s_and_saveexec_b32 s26, s25
	s_cbranch_execz .LBB0_169
.LBB0_168:                              ;   in Loop: Header=BB0_110 Depth=3
	v_and_b32_sdwa v20, v41, v19 dst_sel:DWORD dst_unused:UNUSED_PAD src0_sel:DWORD src1_sel:BYTE_1
	v_and_b32_e32 v52, 3, v20
	v_bfe_u32 v74, v20, 2, 5
	v_ffbh_u32_e32 v96, v52
	v_cmp_eq_u32_e32 vcc_lo, 0, v74
	v_min_u32_e32 v96, 32, v96
	v_subrev_nc_u32_e32 v97, 29, v96
	v_sub_nc_u32_e32 v96, 30, v96
	v_lshlrev_b32_e32 v20, v97, v20
	v_lshlrev_b32_e32 v97, 16, v19
	v_cndmask_b32_e32 v96, v74, v96, vcc_lo
	v_and_b32_e32 v20, 3, v20
	v_lshl_add_u32 v96, v96, 23, 0x37800000
	v_cndmask_b32_e32 v20, v52, v20, vcc_lo
	v_and_b32_e32 v52, 0x80000000, v97
	v_lshlrev_b32_e32 v20, 21, v20
	v_or3_b32 v20, v52, v96, v20
.LBB0_169:                              ;   in Loop: Header=BB0_110 Depth=3
	s_or_b32 exec_lo, exec_lo, s26
	v_cmp_gt_i16_sdwa s26, v83, v119 src0_sel:BYTE_1 src1_sel:DWORD
	s_mov_b32 s25, 0
	s_and_saveexec_b32 s27, s26
	s_xor_b32 s26, exec_lo, s27
	s_cbranch_execz .LBB0_422
; %bb.170:                              ;   in Loop: Header=BB0_110 Depth=3
	v_cmp_eq_u16_sdwa s28, v83, v40 src0_sel:BYTE_1 src1_sel:DWORD
	s_mov_b32 s25, -1
	s_and_saveexec_b32 s27, s28
; %bb.171:                              ;   in Loop: Header=BB0_110 Depth=3
	s_xor_b32 s25, exec_lo, -1
; %bb.172:                              ;   in Loop: Header=BB0_110 Depth=3
	s_or_b32 exec_lo, exec_lo, s27
	s_and_b32 s25, s25, exec_lo
	s_or_saveexec_b32 s26, s26
	v_mov_b32_e32 v52, 0x7f800001
	s_xor_b32 exec_lo, exec_lo, s26
	s_cbranch_execnz .LBB0_423
.LBB0_173:                              ;   in Loop: Header=BB0_110 Depth=3
	s_or_b32 exec_lo, exec_lo, s26
	s_and_saveexec_b32 s26, s25
	s_cbranch_execz .LBB0_175
.LBB0_174:                              ;   in Loop: Header=BB0_110 Depth=3
	v_and_b32_sdwa v52, v41, v83 dst_sel:DWORD dst_unused:UNUSED_PAD src0_sel:DWORD src1_sel:BYTE_1
	v_and_b32_e32 v96, 3, v52
	v_bfe_u32 v75, v52, 2, 5
	v_ffbh_u32_e32 v97, v96
	v_cmp_eq_u32_e32 vcc_lo, 0, v75
	v_min_u32_e32 v97, 32, v97
	v_subrev_nc_u32_e32 v74, 29, v97
	v_sub_nc_u32_e32 v97, 30, v97
	v_lshlrev_b32_e32 v52, v74, v52
	v_lshlrev_b32_e32 v74, 16, v83
	v_cndmask_b32_e32 v97, v75, v97, vcc_lo
	v_and_b32_e32 v52, 3, v52
	v_lshl_add_u32 v97, v97, 23, 0x37800000
	v_cndmask_b32_e32 v52, v96, v52, vcc_lo
	v_and_b32_e32 v96, 0x80000000, v74
	v_lshlrev_b32_e32 v52, 21, v52
	v_or3_b32 v52, v96, v97, v52
.LBB0_175:                              ;   in Loop: Header=BB0_110 Depth=3
	s_or_b32 exec_lo, exec_lo, s26
	v_max_f32_e32 v52, v52, v52
	v_max_f32_e32 v20, v20, v20
	;; [unrolled: 1-line block ×3, first 2 shown]
	s_andn2_saveexec_b32 s12, s12
	s_cbranch_execz .LBB0_190
	s_branch .LBB0_177
.LBB0_176:                              ;   in Loop: Header=BB0_110 Depth=3
	s_andn2_saveexec_b32 s12, s12
	s_cbranch_execz .LBB0_190
.LBB0_177:                              ;   in Loop: Header=BB0_110 Depth=3
	v_cmp_gt_i16_sdwa s26, v19, v119 src0_sel:BYTE_1 src1_sel:DWORD
	s_mov_b32 s25, 0
	s_and_saveexec_b32 s27, s26
	s_xor_b32 s26, exec_lo, s27
	s_cbranch_execz .LBB0_424
; %bb.178:                              ;   in Loop: Header=BB0_110 Depth=3
	v_cmp_eq_u16_sdwa s28, v19, v40 src0_sel:BYTE_1 src1_sel:DWORD
	s_mov_b32 s25, -1
	s_and_saveexec_b32 s27, s28
; %bb.179:                              ;   in Loop: Header=BB0_110 Depth=3
	s_xor_b32 s25, exec_lo, -1
; %bb.180:                              ;   in Loop: Header=BB0_110 Depth=3
	s_or_b32 exec_lo, exec_lo, s27
	s_and_b32 s25, s25, exec_lo
	s_or_saveexec_b32 s26, s26
	v_mov_b32_e32 v20, 0x7f800001
	s_xor_b32 exec_lo, exec_lo, s26
	s_cbranch_execnz .LBB0_425
.LBB0_181:                              ;   in Loop: Header=BB0_110 Depth=3
	s_or_b32 exec_lo, exec_lo, s26
	s_and_saveexec_b32 s26, s25
	s_cbranch_execz .LBB0_183
.LBB0_182:                              ;   in Loop: Header=BB0_110 Depth=3
	v_and_b32_sdwa v20, v41, v19 dst_sel:DWORD dst_unused:UNUSED_PAD src0_sel:DWORD src1_sel:BYTE_1
	v_and_b32_e32 v52, 3, v20
	v_bfe_u32 v74, v20, 2, 5
	v_ffbh_u32_e32 v96, v52
	v_cmp_eq_u32_e32 vcc_lo, 0, v74
	v_min_u32_e32 v96, 32, v96
	v_subrev_nc_u32_e32 v97, 29, v96
	v_sub_nc_u32_e32 v96, 30, v96
	v_lshlrev_b32_e32 v20, v97, v20
	v_lshlrev_b32_e32 v97, 16, v19
	v_cndmask_b32_e32 v96, v74, v96, vcc_lo
	v_and_b32_e32 v20, 3, v20
	v_lshl_add_u32 v96, v96, 23, 0x37800000
	v_cndmask_b32_e32 v20, v52, v20, vcc_lo
	v_and_b32_e32 v52, 0x80000000, v97
	v_lshlrev_b32_e32 v20, 21, v20
	v_or3_b32 v20, v52, v96, v20
.LBB0_183:                              ;   in Loop: Header=BB0_110 Depth=3
	s_or_b32 exec_lo, exec_lo, s26
	v_cmp_gt_i16_sdwa s26, v83, v119 src0_sel:BYTE_1 src1_sel:DWORD
	s_mov_b32 s25, 0
	s_and_saveexec_b32 s27, s26
	s_xor_b32 s26, exec_lo, s27
	s_cbranch_execz .LBB0_426
; %bb.184:                              ;   in Loop: Header=BB0_110 Depth=3
	v_cmp_eq_u16_sdwa s28, v83, v40 src0_sel:BYTE_1 src1_sel:DWORD
	s_mov_b32 s25, -1
	s_and_saveexec_b32 s27, s28
; %bb.185:                              ;   in Loop: Header=BB0_110 Depth=3
	s_xor_b32 s25, exec_lo, -1
; %bb.186:                              ;   in Loop: Header=BB0_110 Depth=3
	s_or_b32 exec_lo, exec_lo, s27
	s_and_b32 s25, s25, exec_lo
	s_or_saveexec_b32 s26, s26
	v_mov_b32_e32 v52, 0x7f800001
	s_xor_b32 exec_lo, exec_lo, s26
	s_cbranch_execnz .LBB0_427
.LBB0_187:                              ;   in Loop: Header=BB0_110 Depth=3
	s_or_b32 exec_lo, exec_lo, s26
	s_and_saveexec_b32 s26, s25
	s_cbranch_execz .LBB0_189
.LBB0_188:                              ;   in Loop: Header=BB0_110 Depth=3
	v_and_b32_sdwa v52, v41, v83 dst_sel:DWORD dst_unused:UNUSED_PAD src0_sel:DWORD src1_sel:BYTE_1
	v_and_b32_e32 v96, 3, v52
	v_bfe_u32 v75, v52, 2, 5
	v_ffbh_u32_e32 v97, v96
	v_cmp_eq_u32_e32 vcc_lo, 0, v75
	v_min_u32_e32 v97, 32, v97
	v_subrev_nc_u32_e32 v74, 29, v97
	v_sub_nc_u32_e32 v97, 30, v97
	v_lshlrev_b32_e32 v52, v74, v52
	v_lshlrev_b32_e32 v74, 16, v83
	v_cndmask_b32_e32 v97, v75, v97, vcc_lo
	v_and_b32_e32 v52, 3, v52
	v_lshl_add_u32 v97, v97, 23, 0x37800000
	v_cndmask_b32_e32 v52, v96, v52, vcc_lo
	v_and_b32_e32 v96, 0x80000000, v74
	v_lshlrev_b32_e32 v52, 21, v52
	v_or3_b32 v52, v96, v97, v52
.LBB0_189:                              ;   in Loop: Header=BB0_110 Depth=3
	s_or_b32 exec_lo, exec_lo, s26
	v_max_f32_e32 v52, v52, v52
	v_max_f32_e32 v20, v20, v20
	v_min_f32_e32 v52, v20, v52
.LBB0_190:                              ;   in Loop: Header=BB0_110 Depth=3
	s_or_b32 exec_lo, exec_lo, s12
	v_and_b32_e32 v20, 0x7f800000, v52
	v_cmp_ne_u32_e32 vcc_lo, 0x7f800000, v20
	v_mov_b32_e32 v20, 0x8000
	s_and_saveexec_b32 s25, vcc_lo
	s_cbranch_execz .LBB0_198
; %bb.191:                              ;   in Loop: Header=BB0_110 Depth=3
	v_mov_b32_e32 v20, 0
	s_mov_b32 s26, exec_lo
	v_cmpx_ne_u32_e32 0, v52
	s_cbranch_execz .LBB0_197
; %bb.192:                              ;   in Loop: Header=BB0_110 Depth=3
	v_bfe_u32 v20, v52, 23, 8
	v_and_b32_e32 v96, 0x7fffff, v52
	v_sub_nc_u32_e32 v97, 0x70, v20
	v_cmp_gt_u32_e32 vcc_lo, 0x71, v20
	v_or_b32_e32 v74, 0x800000, v96
	v_cndmask_b32_e32 v97, 0, v97, vcc_lo
	v_cmp_eq_u32_e32 vcc_lo, 0, v20
	v_add_nc_u32_e32 v20, 0xffffff91, v20
	v_cndmask_b32_e64 v97, v97, 0x6f, vcc_lo
	v_cndmask_b32_e32 v96, v74, v96, vcc_lo
	v_cndmask_b32_e64 v20, v20, 0xffffff92, vcc_lo
	v_lshl_add_u32 v74, 0x200000, v97, -1
	v_lshrrev_b32_e32 v75, v97, v96
	v_lshlrev_b32_e64 v77, v97, 0x100000
	v_add_nc_u32_e32 v97, v97, v20
	v_and_b32_e32 v96, v74, v96
	v_bfe_u32 v76, v75, 21, 1
	v_cmp_eq_u32_e64 s12, v96, v77
	v_add_nc_u32_e32 v74, -1, v76
	v_cndmask_b32_e64 v96, 0, v74, s12
	v_lshrrev_b32_e32 v74, 23, v75
	s_mov_b32 s12, exec_lo
	v_add_nc_u32_e32 v96, v96, v75
	v_xor_b32_e32 v74, 1, v74
	v_and_b32_e32 v20, 0x1fffff, v96
	v_add_nc_u32_e32 v96, v20, v75
                                        ; implicit-def: $vgpr20
	v_cmpx_ne_u32_e64 v97, v74
	s_xor_b32 s12, exec_lo, s12
; %bb.193:                              ;   in Loop: Header=BB0_110 Depth=3
	v_cmp_lt_u32_e32 vcc_lo, 0xffffff, v96
	v_sub_nc_u32_e32 v20, v97, v74
	v_cndmask_b32_e64 v97, 0, 1, vcc_lo
	v_add_co_ci_u32_e64 v20, null, 0, v20, vcc_lo
	v_lshrrev_b32_e32 v96, v97, v96
; %bb.194:                              ;   in Loop: Header=BB0_110 Depth=3
	s_andn2_saveexec_b32 s12, s12
; %bb.195:                              ;   in Loop: Header=BB0_110 Depth=3
	v_bfe_u32 v20, v96, 23, 1
; %bb.196:                              ;   in Loop: Header=BB0_110 Depth=3
	s_or_b32 exec_lo, exec_lo, s12
	v_lshrrev_b32_e32 v96, 21, v96
	v_min_i32_e32 v97, 31, v20
	v_cmp_gt_i32_e32 vcc_lo, 32, v20
	v_and_b32_sdwa v52, v52, v40 dst_sel:DWORD dst_unused:UNUSED_PAD src0_sel:BYTE_3 src1_sel:DWORD
	v_lshlrev_b32_e32 v97, 2, v97
	v_cndmask_b32_e32 v96, 3, v96, vcc_lo
	v_and_b32_e32 v97, 0xfc, v97
	v_and_b32_e32 v74, 3, v96
	v_or_b32_e32 v20, v20, v96
	v_or3_b32 v52, v52, v97, v74
	v_cmp_ne_u32_e32 vcc_lo, 0, v20
	v_lshlrev_b32_e32 v52, 8, v52
	v_cndmask_b32_e32 v20, 0, v52, vcc_lo
.LBB0_197:                              ;   in Loop: Header=BB0_110 Depth=3
	s_or_b32 exec_lo, exec_lo, s26
.LBB0_198:                              ;   in Loop: Header=BB0_110 Depth=3
	s_or_b32 exec_lo, exec_lo, s25
                                        ; implicit-def: $vgpr96
	s_and_saveexec_b32 s12, s9
	s_xor_b32 s12, exec_lo, s12
	s_cbranch_execz .LBB0_212
; %bb.199:                              ;   in Loop: Header=BB0_110 Depth=3
	v_and_b32_sdwa v96, v19, v42 dst_sel:DWORD dst_unused:UNUSED_PAD src0_sel:WORD_1 src1_sel:DWORD
	s_mov_b32 s25, 0
	s_mov_b32 s26, exec_lo
	v_cmpx_lt_i16_e32 0x7f, v96
	s_xor_b32 s26, exec_lo, s26
	s_cbranch_execz .LBB0_428
; %bb.200:                              ;   in Loop: Header=BB0_110 Depth=3
	s_mov_b32 s25, -1
	s_mov_b32 s27, exec_lo
	v_cmpx_eq_u16_e32 0x80, v96
; %bb.201:                              ;   in Loop: Header=BB0_110 Depth=3
	s_xor_b32 s25, exec_lo, -1
; %bb.202:                              ;   in Loop: Header=BB0_110 Depth=3
	s_or_b32 exec_lo, exec_lo, s27
	s_and_b32 s25, s25, exec_lo
                                        ; implicit-def: $vgpr96
	s_or_saveexec_b32 s26, s26
	v_mov_b32_e32 v52, 0x7f800001
	s_xor_b32 exec_lo, exec_lo, s26
	s_cbranch_execnz .LBB0_429
.LBB0_203:                              ;   in Loop: Header=BB0_110 Depth=3
	s_or_b32 exec_lo, exec_lo, s26
	s_and_saveexec_b32 s26, s25
	s_cbranch_execz .LBB0_205
.LBB0_204:                              ;   in Loop: Header=BB0_110 Depth=3
	v_bfe_u32 v52, v19, 16, 2
	v_bfe_u32 v74, v19, 18, 5
	v_lshlrev_b32_sdwa v75, v43, v19 dst_sel:DWORD dst_unused:UNUSED_PAD src0_sel:DWORD src1_sel:WORD_1
	v_ffbh_u32_e32 v96, v52
	v_cmp_eq_u32_e32 vcc_lo, 0, v74
	v_min_u32_e32 v96, 32, v96
	v_subrev_nc_u32_e32 v97, 29, v96
	v_sub_nc_u32_e32 v96, 30, v96
	v_lshlrev_b32_sdwa v97, v97, v19 dst_sel:DWORD dst_unused:UNUSED_PAD src0_sel:DWORD src1_sel:WORD_1
	v_cndmask_b32_e32 v96, v74, v96, vcc_lo
	v_and_b32_e32 v97, 3, v97
	v_lshl_add_u32 v96, v96, 23, 0x37800000
	v_cndmask_b32_e32 v52, v52, v97, vcc_lo
	v_and_b32_e32 v97, 0x80000000, v75
	v_lshlrev_b32_e32 v52, 21, v52
	v_or3_b32 v52, v97, v96, v52
.LBB0_205:                              ;   in Loop: Header=BB0_110 Depth=3
	s_or_b32 exec_lo, exec_lo, s26
	v_and_b32_sdwa v97, v83, v42 dst_sel:DWORD dst_unused:UNUSED_PAD src0_sel:WORD_1 src1_sel:DWORD
	s_mov_b32 s25, 0
	s_mov_b32 s26, exec_lo
	v_cmpx_lt_i16_e32 0x7f, v97
	s_xor_b32 s26, exec_lo, s26
	s_cbranch_execz .LBB0_430
; %bb.206:                              ;   in Loop: Header=BB0_110 Depth=3
	s_mov_b32 s25, -1
	s_mov_b32 s27, exec_lo
	v_cmpx_eq_u16_e32 0x80, v97
; %bb.207:                              ;   in Loop: Header=BB0_110 Depth=3
	s_xor_b32 s25, exec_lo, -1
; %bb.208:                              ;   in Loop: Header=BB0_110 Depth=3
	s_or_b32 exec_lo, exec_lo, s27
	s_and_b32 s25, s25, exec_lo
                                        ; implicit-def: $vgpr97
	s_or_saveexec_b32 s26, s26
	v_mov_b32_e32 v96, 0x7f800001
	s_xor_b32 exec_lo, exec_lo, s26
	s_cbranch_execnz .LBB0_431
.LBB0_209:                              ;   in Loop: Header=BB0_110 Depth=3
	s_or_b32 exec_lo, exec_lo, s26
	s_and_saveexec_b32 s26, s25
	s_cbranch_execz .LBB0_211
.LBB0_210:                              ;   in Loop: Header=BB0_110 Depth=3
	v_bfe_u32 v96, v83, 16, 2
	v_bfe_u32 v75, v83, 18, 5
	v_lshlrev_b32_sdwa v76, v43, v83 dst_sel:DWORD dst_unused:UNUSED_PAD src0_sel:DWORD src1_sel:WORD_1
	v_ffbh_u32_e32 v97, v96
	v_cmp_eq_u32_e32 vcc_lo, 0, v75
	v_min_u32_e32 v97, 32, v97
	v_subrev_nc_u32_e32 v74, 29, v97
	v_sub_nc_u32_e32 v97, 30, v97
	v_lshlrev_b32_sdwa v74, v74, v83 dst_sel:DWORD dst_unused:UNUSED_PAD src0_sel:DWORD src1_sel:WORD_1
	v_cndmask_b32_e32 v97, v75, v97, vcc_lo
	v_and_b32_e32 v74, 3, v74
	v_lshl_add_u32 v97, v97, 23, 0x37800000
	v_cndmask_b32_e32 v96, v96, v74, vcc_lo
	v_and_b32_e32 v74, 0x80000000, v76
	v_lshlrev_b32_e32 v96, 21, v96
	v_or3_b32 v96, v74, v97, v96
.LBB0_211:                              ;   in Loop: Header=BB0_110 Depth=3
	s_or_b32 exec_lo, exec_lo, s26
	v_max_f32_e32 v96, v96, v96
	v_max_f32_e32 v52, v52, v52
	;; [unrolled: 1-line block ×3, first 2 shown]
	s_andn2_saveexec_b32 s12, s12
	s_cbranch_execz .LBB0_226
	s_branch .LBB0_213
.LBB0_212:                              ;   in Loop: Header=BB0_110 Depth=3
	s_andn2_saveexec_b32 s12, s12
	s_cbranch_execz .LBB0_226
.LBB0_213:                              ;   in Loop: Header=BB0_110 Depth=3
	v_and_b32_sdwa v96, v19, v42 dst_sel:DWORD dst_unused:UNUSED_PAD src0_sel:WORD_1 src1_sel:DWORD
	s_mov_b32 s25, 0
	s_mov_b32 s26, exec_lo
	v_cmpx_lt_i16_e32 0x7f, v96
	s_xor_b32 s26, exec_lo, s26
	s_cbranch_execz .LBB0_432
; %bb.214:                              ;   in Loop: Header=BB0_110 Depth=3
	s_mov_b32 s25, -1
	s_mov_b32 s27, exec_lo
	v_cmpx_eq_u16_e32 0x80, v96
; %bb.215:                              ;   in Loop: Header=BB0_110 Depth=3
	s_xor_b32 s25, exec_lo, -1
; %bb.216:                              ;   in Loop: Header=BB0_110 Depth=3
	s_or_b32 exec_lo, exec_lo, s27
	s_and_b32 s25, s25, exec_lo
                                        ; implicit-def: $vgpr96
	s_or_saveexec_b32 s26, s26
	v_mov_b32_e32 v52, 0x7f800001
	s_xor_b32 exec_lo, exec_lo, s26
	s_cbranch_execnz .LBB0_433
.LBB0_217:                              ;   in Loop: Header=BB0_110 Depth=3
	s_or_b32 exec_lo, exec_lo, s26
	s_and_saveexec_b32 s26, s25
	s_cbranch_execz .LBB0_219
.LBB0_218:                              ;   in Loop: Header=BB0_110 Depth=3
	v_bfe_u32 v52, v19, 16, 2
	v_bfe_u32 v74, v19, 18, 5
	v_lshlrev_b32_sdwa v75, v43, v19 dst_sel:DWORD dst_unused:UNUSED_PAD src0_sel:DWORD src1_sel:WORD_1
	v_ffbh_u32_e32 v96, v52
	v_cmp_eq_u32_e32 vcc_lo, 0, v74
	v_min_u32_e32 v96, 32, v96
	v_subrev_nc_u32_e32 v97, 29, v96
	v_sub_nc_u32_e32 v96, 30, v96
	v_lshlrev_b32_sdwa v97, v97, v19 dst_sel:DWORD dst_unused:UNUSED_PAD src0_sel:DWORD src1_sel:WORD_1
	v_cndmask_b32_e32 v96, v74, v96, vcc_lo
	v_and_b32_e32 v97, 3, v97
	v_lshl_add_u32 v96, v96, 23, 0x37800000
	v_cndmask_b32_e32 v52, v52, v97, vcc_lo
	v_and_b32_e32 v97, 0x80000000, v75
	v_lshlrev_b32_e32 v52, 21, v52
	v_or3_b32 v52, v97, v96, v52
.LBB0_219:                              ;   in Loop: Header=BB0_110 Depth=3
	s_or_b32 exec_lo, exec_lo, s26
	v_and_b32_sdwa v97, v83, v42 dst_sel:DWORD dst_unused:UNUSED_PAD src0_sel:WORD_1 src1_sel:DWORD
	s_mov_b32 s25, 0
	s_mov_b32 s26, exec_lo
	v_cmpx_lt_i16_e32 0x7f, v97
	s_xor_b32 s26, exec_lo, s26
	s_cbranch_execz .LBB0_434
; %bb.220:                              ;   in Loop: Header=BB0_110 Depth=3
	s_mov_b32 s25, -1
	s_mov_b32 s27, exec_lo
	v_cmpx_eq_u16_e32 0x80, v97
; %bb.221:                              ;   in Loop: Header=BB0_110 Depth=3
	s_xor_b32 s25, exec_lo, -1
; %bb.222:                              ;   in Loop: Header=BB0_110 Depth=3
	s_or_b32 exec_lo, exec_lo, s27
	s_and_b32 s25, s25, exec_lo
                                        ; implicit-def: $vgpr97
	s_or_saveexec_b32 s26, s26
	v_mov_b32_e32 v96, 0x7f800001
	s_xor_b32 exec_lo, exec_lo, s26
	s_cbranch_execnz .LBB0_435
.LBB0_223:                              ;   in Loop: Header=BB0_110 Depth=3
	s_or_b32 exec_lo, exec_lo, s26
	s_and_saveexec_b32 s26, s25
	s_cbranch_execz .LBB0_225
.LBB0_224:                              ;   in Loop: Header=BB0_110 Depth=3
	v_bfe_u32 v96, v83, 16, 2
	v_bfe_u32 v75, v83, 18, 5
	v_lshlrev_b32_sdwa v76, v43, v83 dst_sel:DWORD dst_unused:UNUSED_PAD src0_sel:DWORD src1_sel:WORD_1
	v_ffbh_u32_e32 v97, v96
	v_cmp_eq_u32_e32 vcc_lo, 0, v75
	v_min_u32_e32 v97, 32, v97
	v_subrev_nc_u32_e32 v74, 29, v97
	v_sub_nc_u32_e32 v97, 30, v97
	v_lshlrev_b32_sdwa v74, v74, v83 dst_sel:DWORD dst_unused:UNUSED_PAD src0_sel:DWORD src1_sel:WORD_1
	v_cndmask_b32_e32 v97, v75, v97, vcc_lo
	v_and_b32_e32 v74, 3, v74
	v_lshl_add_u32 v97, v97, 23, 0x37800000
	v_cndmask_b32_e32 v96, v96, v74, vcc_lo
	v_and_b32_e32 v74, 0x80000000, v76
	v_lshlrev_b32_e32 v96, 21, v96
	v_or3_b32 v96, v74, v97, v96
.LBB0_225:                              ;   in Loop: Header=BB0_110 Depth=3
	s_or_b32 exec_lo, exec_lo, s26
	v_max_f32_e32 v96, v96, v96
	v_max_f32_e32 v52, v52, v52
	v_min_f32_e32 v96, v52, v96
.LBB0_226:                              ;   in Loop: Header=BB0_110 Depth=3
	s_or_b32 exec_lo, exec_lo, s12
	v_and_b32_e32 v52, 0x7f800000, v96
	v_cmp_ne_u32_e32 vcc_lo, 0x7f800000, v52
	v_mov_b32_e32 v52, 0x80
	s_and_saveexec_b32 s25, vcc_lo
	s_cbranch_execz .LBB0_234
; %bb.227:                              ;   in Loop: Header=BB0_110 Depth=3
	v_mov_b32_e32 v52, 0
	s_mov_b32 s26, exec_lo
	v_cmpx_ne_u32_e32 0, v96
	s_cbranch_execz .LBB0_233
; %bb.228:                              ;   in Loop: Header=BB0_110 Depth=3
	v_bfe_u32 v52, v96, 23, 8
	v_and_b32_e32 v97, 0x7fffff, v96
	v_sub_nc_u32_e32 v74, 0x70, v52
	v_cmp_gt_u32_e32 vcc_lo, 0x71, v52
	v_or_b32_e32 v75, 0x800000, v97
	v_cndmask_b32_e32 v74, 0, v74, vcc_lo
	v_cmp_eq_u32_e32 vcc_lo, 0, v52
	v_add_nc_u32_e32 v52, 0xffffff91, v52
	v_cndmask_b32_e64 v74, v74, 0x6f, vcc_lo
	v_cndmask_b32_e32 v97, v75, v97, vcc_lo
	v_cndmask_b32_e64 v52, v52, 0xffffff92, vcc_lo
	v_lshl_add_u32 v75, 0x200000, v74, -1
	v_lshrrev_b32_e32 v76, v74, v97
	v_lshlrev_b32_e64 v78, v74, 0x100000
	v_add_nc_u32_e32 v74, v74, v52
	v_and_b32_e32 v97, v75, v97
	v_bfe_u32 v77, v76, 21, 1
	v_cmp_eq_u32_e64 s12, v97, v78
	v_add_nc_u32_e32 v75, -1, v77
	v_cndmask_b32_e64 v97, 0, v75, s12
	v_lshrrev_b32_e32 v75, 23, v76
	s_mov_b32 s12, exec_lo
	v_add_nc_u32_e32 v97, v97, v76
	v_xor_b32_e32 v75, 1, v75
	v_and_b32_e32 v52, 0x1fffff, v97
	v_add_nc_u32_e32 v97, v52, v76
                                        ; implicit-def: $vgpr52
	v_cmpx_ne_u32_e64 v74, v75
	s_xor_b32 s12, exec_lo, s12
; %bb.229:                              ;   in Loop: Header=BB0_110 Depth=3
	v_cmp_lt_u32_e32 vcc_lo, 0xffffff, v97
	v_sub_nc_u32_e32 v52, v74, v75
	v_cndmask_b32_e64 v74, 0, 1, vcc_lo
	v_add_co_ci_u32_e64 v52, null, 0, v52, vcc_lo
	v_lshrrev_b32_e32 v97, v74, v97
; %bb.230:                              ;   in Loop: Header=BB0_110 Depth=3
	s_andn2_saveexec_b32 s12, s12
; %bb.231:                              ;   in Loop: Header=BB0_110 Depth=3
	v_bfe_u32 v52, v97, 23, 1
; %bb.232:                              ;   in Loop: Header=BB0_110 Depth=3
	s_or_b32 exec_lo, exec_lo, s12
	v_lshrrev_b32_e32 v97, 21, v97
	v_min_i32_e32 v74, 31, v52
	v_cmp_gt_i32_e32 vcc_lo, 32, v52
	v_and_b32_sdwa v96, v96, v40 dst_sel:DWORD dst_unused:UNUSED_PAD src0_sel:BYTE_3 src1_sel:DWORD
	v_lshlrev_b32_e32 v74, 2, v74
	v_cndmask_b32_e32 v97, 3, v97, vcc_lo
	v_and_b32_e32 v74, 0xfc, v74
	v_and_b32_e32 v75, 3, v97
	v_or_b32_e32 v52, v52, v97
	v_or3_b32 v96, v74, v96, v75
	v_cmp_ne_u32_e32 vcc_lo, 0, v52
	v_cndmask_b32_e32 v52, 0, v96, vcc_lo
.LBB0_233:                              ;   in Loop: Header=BB0_110 Depth=3
	s_or_b32 exec_lo, exec_lo, s26
.LBB0_234:                              ;   in Loop: Header=BB0_110 Depth=3
	s_or_b32 exec_lo, exec_lo, s25
                                        ; implicit-def: $vgpr96
	s_and_saveexec_b32 s12, s9
	s_xor_b32 s12, exec_lo, s12
	s_cbranch_execz .LBB0_248
; %bb.235:                              ;   in Loop: Header=BB0_110 Depth=3
	v_cmp_gt_i16_sdwa s26, v19, v119 src0_sel:BYTE_3 src1_sel:DWORD
	s_mov_b32 s25, 0
	s_and_saveexec_b32 s27, s26
	s_xor_b32 s26, exec_lo, s27
	s_cbranch_execz .LBB0_436
; %bb.236:                              ;   in Loop: Header=BB0_110 Depth=3
	v_cmp_eq_u16_sdwa s28, v19, v40 src0_sel:BYTE_3 src1_sel:DWORD
	s_mov_b32 s25, -1
	s_and_saveexec_b32 s27, s28
; %bb.237:                              ;   in Loop: Header=BB0_110 Depth=3
	s_xor_b32 s25, exec_lo, -1
; %bb.238:                              ;   in Loop: Header=BB0_110 Depth=3
	s_or_b32 exec_lo, exec_lo, s27
	s_and_b32 s25, s25, exec_lo
	s_or_saveexec_b32 s26, s26
	v_mov_b32_e32 v96, 0x7f800001
	s_xor_b32 exec_lo, exec_lo, s26
	s_cbranch_execnz .LBB0_437
.LBB0_239:                              ;   in Loop: Header=BB0_110 Depth=3
	s_or_b32 exec_lo, exec_lo, s26
	s_and_saveexec_b32 s26, s25
	s_cbranch_execz .LBB0_241
.LBB0_240:                              ;   in Loop: Header=BB0_110 Depth=3
	v_bfe_u32 v96, v19, 24, 2
	v_bfe_u32 v75, v19, 26, 5
	v_ffbh_u32_e32 v97, v96
	v_cmp_eq_u32_e32 vcc_lo, 0, v75
	v_min_u32_e32 v97, 32, v97
	v_subrev_nc_u32_e32 v74, 29, v97
	v_sub_nc_u32_e32 v97, 30, v97
	v_lshlrev_b32_sdwa v74, v74, v19 dst_sel:DWORD dst_unused:UNUSED_PAD src0_sel:DWORD src1_sel:BYTE_3
	v_cndmask_b32_e32 v97, v75, v97, vcc_lo
	v_and_b32_e32 v19, 0x80000000, v19
	v_and_b32_e32 v74, 3, v74
	v_lshl_add_u32 v97, v97, 23, 0x37800000
	v_cndmask_b32_e32 v96, v96, v74, vcc_lo
	v_lshlrev_b32_e32 v96, 21, v96
	v_or3_b32 v96, v19, v97, v96
.LBB0_241:                              ;   in Loop: Header=BB0_110 Depth=3
	s_or_b32 exec_lo, exec_lo, s26
	v_cmp_gt_i16_sdwa s26, v83, v119 src0_sel:BYTE_3 src1_sel:DWORD
	s_mov_b32 s25, 0
	s_and_saveexec_b32 s27, s26
	s_xor_b32 s26, exec_lo, s27
	s_cbranch_execz .LBB0_438
; %bb.242:                              ;   in Loop: Header=BB0_110 Depth=3
	v_cmp_eq_u16_sdwa s28, v83, v40 src0_sel:BYTE_3 src1_sel:DWORD
	s_mov_b32 s25, -1
	s_and_saveexec_b32 s27, s28
; %bb.243:                              ;   in Loop: Header=BB0_110 Depth=3
	s_xor_b32 s25, exec_lo, -1
; %bb.244:                              ;   in Loop: Header=BB0_110 Depth=3
	s_or_b32 exec_lo, exec_lo, s27
	s_and_b32 s25, s25, exec_lo
	s_or_saveexec_b32 s26, s26
	v_mov_b32_e32 v19, 0x7f800001
	s_xor_b32 exec_lo, exec_lo, s26
	s_cbranch_execnz .LBB0_439
.LBB0_245:                              ;   in Loop: Header=BB0_110 Depth=3
	s_or_b32 exec_lo, exec_lo, s26
	s_and_saveexec_b32 s26, s25
	s_cbranch_execz .LBB0_247
.LBB0_246:                              ;   in Loop: Header=BB0_110 Depth=3
	v_bfe_u32 v19, v83, 24, 2
	v_bfe_u32 v75, v83, 26, 5
	v_ffbh_u32_e32 v97, v19
	v_cmp_eq_u32_e32 vcc_lo, 0, v75
	v_min_u32_e32 v97, 32, v97
	v_subrev_nc_u32_e32 v74, 29, v97
	v_sub_nc_u32_e32 v97, 30, v97
	v_lshlrev_b32_sdwa v74, v74, v83 dst_sel:DWORD dst_unused:UNUSED_PAD src0_sel:DWORD src1_sel:BYTE_3
	v_cndmask_b32_e32 v97, v75, v97, vcc_lo
	v_and_b32_e32 v83, 0x80000000, v83
	v_and_b32_e32 v74, 3, v74
	v_lshl_add_u32 v97, v97, 23, 0x37800000
	v_cndmask_b32_e32 v19, v19, v74, vcc_lo
	v_lshlrev_b32_e32 v19, 21, v19
	v_or3_b32 v19, v83, v97, v19
.LBB0_247:                              ;   in Loop: Header=BB0_110 Depth=3
	s_or_b32 exec_lo, exec_lo, s26
	v_max_f32_e32 v19, v19, v19
	v_max_f32_e32 v83, v96, v96
	;; [unrolled: 1-line block ×3, first 2 shown]
                                        ; implicit-def: $vgpr83
	s_andn2_saveexec_b32 s12, s12
	s_cbranch_execz .LBB0_262
	s_branch .LBB0_249
.LBB0_248:                              ;   in Loop: Header=BB0_110 Depth=3
	s_andn2_saveexec_b32 s12, s12
	s_cbranch_execz .LBB0_262
.LBB0_249:                              ;   in Loop: Header=BB0_110 Depth=3
	v_cmp_gt_i16_sdwa s26, v19, v119 src0_sel:BYTE_3 src1_sel:DWORD
	s_mov_b32 s25, 0
	s_and_saveexec_b32 s27, s26
	s_xor_b32 s26, exec_lo, s27
	s_cbranch_execz .LBB0_440
; %bb.250:                              ;   in Loop: Header=BB0_110 Depth=3
	v_cmp_eq_u16_sdwa s28, v19, v40 src0_sel:BYTE_3 src1_sel:DWORD
	s_mov_b32 s25, -1
	s_and_saveexec_b32 s27, s28
; %bb.251:                              ;   in Loop: Header=BB0_110 Depth=3
	s_xor_b32 s25, exec_lo, -1
; %bb.252:                              ;   in Loop: Header=BB0_110 Depth=3
	s_or_b32 exec_lo, exec_lo, s27
	s_and_b32 s25, s25, exec_lo
	s_or_saveexec_b32 s26, s26
	v_mov_b32_e32 v96, 0x7f800001
	s_xor_b32 exec_lo, exec_lo, s26
	s_cbranch_execnz .LBB0_441
.LBB0_253:                              ;   in Loop: Header=BB0_110 Depth=3
	s_or_b32 exec_lo, exec_lo, s26
	s_and_saveexec_b32 s26, s25
	s_cbranch_execz .LBB0_255
.LBB0_254:                              ;   in Loop: Header=BB0_110 Depth=3
	v_bfe_u32 v96, v19, 24, 2
	v_bfe_u32 v75, v19, 26, 5
	v_ffbh_u32_e32 v97, v96
	v_cmp_eq_u32_e32 vcc_lo, 0, v75
	v_min_u32_e32 v97, 32, v97
	v_subrev_nc_u32_e32 v74, 29, v97
	v_sub_nc_u32_e32 v97, 30, v97
	v_lshlrev_b32_sdwa v74, v74, v19 dst_sel:DWORD dst_unused:UNUSED_PAD src0_sel:DWORD src1_sel:BYTE_3
	v_cndmask_b32_e32 v97, v75, v97, vcc_lo
	v_and_b32_e32 v19, 0x80000000, v19
	v_and_b32_e32 v74, 3, v74
	v_lshl_add_u32 v97, v97, 23, 0x37800000
	v_cndmask_b32_e32 v96, v96, v74, vcc_lo
	v_lshlrev_b32_e32 v96, 21, v96
	v_or3_b32 v96, v19, v97, v96
.LBB0_255:                              ;   in Loop: Header=BB0_110 Depth=3
	s_or_b32 exec_lo, exec_lo, s26
	v_cmp_gt_i16_sdwa s26, v83, v119 src0_sel:BYTE_3 src1_sel:DWORD
	s_mov_b32 s25, 0
	s_and_saveexec_b32 s27, s26
	s_xor_b32 s26, exec_lo, s27
	s_cbranch_execz .LBB0_442
; %bb.256:                              ;   in Loop: Header=BB0_110 Depth=3
	v_cmp_eq_u16_sdwa s28, v83, v40 src0_sel:BYTE_3 src1_sel:DWORD
	s_mov_b32 s25, -1
	s_and_saveexec_b32 s27, s28
; %bb.257:                              ;   in Loop: Header=BB0_110 Depth=3
	s_xor_b32 s25, exec_lo, -1
; %bb.258:                              ;   in Loop: Header=BB0_110 Depth=3
	s_or_b32 exec_lo, exec_lo, s27
	s_and_b32 s25, s25, exec_lo
	s_or_saveexec_b32 s26, s26
	v_mov_b32_e32 v19, 0x7f800001
	s_xor_b32 exec_lo, exec_lo, s26
	s_cbranch_execnz .LBB0_443
.LBB0_259:                              ;   in Loop: Header=BB0_110 Depth=3
	s_or_b32 exec_lo, exec_lo, s26
	s_and_saveexec_b32 s26, s25
	s_cbranch_execz .LBB0_261
.LBB0_260:                              ;   in Loop: Header=BB0_110 Depth=3
	v_bfe_u32 v19, v83, 24, 2
	v_bfe_u32 v75, v83, 26, 5
	v_ffbh_u32_e32 v97, v19
	v_cmp_eq_u32_e32 vcc_lo, 0, v75
	v_min_u32_e32 v97, 32, v97
	v_subrev_nc_u32_e32 v74, 29, v97
	v_sub_nc_u32_e32 v97, 30, v97
	v_lshlrev_b32_sdwa v74, v74, v83 dst_sel:DWORD dst_unused:UNUSED_PAD src0_sel:DWORD src1_sel:BYTE_3
	v_cndmask_b32_e32 v97, v75, v97, vcc_lo
	v_and_b32_e32 v83, 0x80000000, v83
	v_and_b32_e32 v74, 3, v74
	v_lshl_add_u32 v97, v97, 23, 0x37800000
	v_cndmask_b32_e32 v19, v19, v74, vcc_lo
	v_lshlrev_b32_e32 v19, 21, v19
	v_or3_b32 v19, v83, v97, v19
.LBB0_261:                              ;   in Loop: Header=BB0_110 Depth=3
	s_or_b32 exec_lo, exec_lo, s26
	v_max_f32_e32 v19, v19, v19
	v_max_f32_e32 v83, v96, v96
	v_min_f32_e32 v96, v83, v19
.LBB0_262:                              ;   in Loop: Header=BB0_110 Depth=3
	s_or_b32 exec_lo, exec_lo, s12
	v_and_b32_e32 v19, 0x7f800000, v96
	v_cmp_ne_u32_e32 vcc_lo, 0x7f800000, v19
	v_mov_b32_e32 v19, 0x8000
	s_and_saveexec_b32 s25, vcc_lo
	s_cbranch_execz .LBB0_270
; %bb.263:                              ;   in Loop: Header=BB0_110 Depth=3
	v_mov_b32_e32 v19, 0
	s_mov_b32 s26, exec_lo
	v_cmpx_ne_u32_e32 0, v96
	s_cbranch_execz .LBB0_269
; %bb.264:                              ;   in Loop: Header=BB0_110 Depth=3
	v_bfe_u32 v19, v96, 23, 8
	v_and_b32_e32 v83, 0x7fffff, v96
	v_sub_nc_u32_e32 v97, 0x70, v19
	v_cmp_gt_u32_e32 vcc_lo, 0x71, v19
	v_or_b32_e32 v74, 0x800000, v83
	v_cndmask_b32_e32 v97, 0, v97, vcc_lo
	v_cmp_eq_u32_e32 vcc_lo, 0, v19
	v_add_nc_u32_e32 v19, 0xffffff91, v19
	v_cndmask_b32_e64 v97, v97, 0x6f, vcc_lo
	v_cndmask_b32_e32 v83, v74, v83, vcc_lo
	v_cndmask_b32_e64 v19, v19, 0xffffff92, vcc_lo
	v_lshl_add_u32 v74, 0x200000, v97, -1
	v_lshrrev_b32_e32 v75, v97, v83
	v_lshlrev_b32_e64 v77, v97, 0x100000
	v_add_nc_u32_e32 v97, v97, v19
	v_and_b32_e32 v83, v74, v83
	v_bfe_u32 v76, v75, 21, 1
	v_cmp_eq_u32_e64 s12, v83, v77
	v_add_nc_u32_e32 v74, -1, v76
	v_cndmask_b32_e64 v83, 0, v74, s12
	v_lshrrev_b32_e32 v74, 23, v75
	s_mov_b32 s12, exec_lo
	v_add_nc_u32_e32 v83, v83, v75
	v_xor_b32_e32 v74, 1, v74
	v_and_b32_e32 v19, 0x1fffff, v83
	v_add_nc_u32_e32 v83, v19, v75
                                        ; implicit-def: $vgpr19
	v_cmpx_ne_u32_e64 v97, v74
	s_xor_b32 s12, exec_lo, s12
; %bb.265:                              ;   in Loop: Header=BB0_110 Depth=3
	v_cmp_lt_u32_e32 vcc_lo, 0xffffff, v83
	v_sub_nc_u32_e32 v19, v97, v74
	v_cndmask_b32_e64 v97, 0, 1, vcc_lo
	v_add_co_ci_u32_e64 v19, null, 0, v19, vcc_lo
	v_lshrrev_b32_e32 v83, v97, v83
; %bb.266:                              ;   in Loop: Header=BB0_110 Depth=3
	s_andn2_saveexec_b32 s12, s12
; %bb.267:                              ;   in Loop: Header=BB0_110 Depth=3
	v_bfe_u32 v19, v83, 23, 1
; %bb.268:                              ;   in Loop: Header=BB0_110 Depth=3
	s_or_b32 exec_lo, exec_lo, s12
	v_lshrrev_b32_e32 v83, 21, v83
	v_min_i32_e32 v97, 31, v19
	v_cmp_gt_i32_e32 vcc_lo, 32, v19
	v_and_b32_sdwa v96, v96, v40 dst_sel:DWORD dst_unused:UNUSED_PAD src0_sel:BYTE_3 src1_sel:DWORD
	v_lshlrev_b32_e32 v97, 2, v97
	v_cndmask_b32_e32 v83, 3, v83, vcc_lo
	v_and_b32_e32 v97, 0xfc, v97
	v_and_b32_e32 v74, 3, v83
	v_or_b32_e32 v19, v19, v83
	v_or3_b32 v96, v96, v97, v74
	v_cmp_ne_u32_e32 vcc_lo, 0, v19
	v_lshlrev_b32_e32 v83, 8, v96
	v_cndmask_b32_e32 v19, 0, v83, vcc_lo
.LBB0_269:                              ;   in Loop: Header=BB0_110 Depth=3
	s_or_b32 exec_lo, exec_lo, s26
.LBB0_270:                              ;   in Loop: Header=BB0_110 Depth=3
	s_or_b32 exec_lo, exec_lo, s25
	v_alignbit_b32 v83, v72, v73, v22
                                        ; implicit-def: $vgpr22
	s_and_saveexec_b32 s12, s9
	s_xor_b32 s12, exec_lo, s12
	s_cbranch_execz .LBB0_284
; %bb.271:                              ;   in Loop: Header=BB0_110 Depth=3
	v_cmp_gt_i16_sdwa s26, v21, v119 src0_sel:BYTE_0 src1_sel:DWORD
	s_mov_b32 s25, 0
	s_and_saveexec_b32 s27, s26
	s_xor_b32 s26, exec_lo, s27
	s_cbranch_execz .LBB0_444
; %bb.272:                              ;   in Loop: Header=BB0_110 Depth=3
	v_cmp_eq_u16_sdwa s28, v21, v40 src0_sel:BYTE_0 src1_sel:DWORD
	s_mov_b32 s25, -1
	s_and_saveexec_b32 s27, s28
; %bb.273:                              ;   in Loop: Header=BB0_110 Depth=3
	s_xor_b32 s25, exec_lo, -1
; %bb.274:                              ;   in Loop: Header=BB0_110 Depth=3
	s_or_b32 exec_lo, exec_lo, s27
	s_and_b32 s25, s25, exec_lo
	s_or_saveexec_b32 s26, s26
	v_mov_b32_e32 v22, 0x7f800001
	s_xor_b32 exec_lo, exec_lo, s26
	s_cbranch_execnz .LBB0_445
.LBB0_275:                              ;   in Loop: Header=BB0_110 Depth=3
	s_or_b32 exec_lo, exec_lo, s26
	s_and_saveexec_b32 s26, s25
	s_cbranch_execz .LBB0_277
.LBB0_276:                              ;   in Loop: Header=BB0_110 Depth=3
	v_and_b32_e32 v22, 3, v21
	v_bfe_u32 v72, v21, 2, 5
	v_lshlrev_b32_e32 v73, 24, v21
	v_ffbh_u32_e32 v96, v22
	v_cmp_eq_u32_e32 vcc_lo, 0, v72
	v_min_u32_e32 v96, 32, v96
	v_subrev_nc_u32_e32 v97, 29, v96
	v_sub_nc_u32_e32 v96, 30, v96
	v_lshlrev_b32_e32 v97, v97, v21
	v_cndmask_b32_e32 v96, v72, v96, vcc_lo
	v_and_b32_e32 v97, 3, v97
	v_lshl_add_u32 v96, v96, 23, 0x37800000
	v_cndmask_b32_e32 v22, v22, v97, vcc_lo
	v_and_b32_e32 v97, 0x80000000, v73
	v_lshlrev_b32_e32 v22, 21, v22
	v_or3_b32 v22, v97, v96, v22
.LBB0_277:                              ;   in Loop: Header=BB0_110 Depth=3
	s_or_b32 exec_lo, exec_lo, s26
	v_cmp_gt_i16_sdwa s26, v83, v119 src0_sel:BYTE_0 src1_sel:DWORD
	s_mov_b32 s25, 0
	s_and_saveexec_b32 s27, s26
	s_xor_b32 s26, exec_lo, s27
	s_cbranch_execz .LBB0_446
; %bb.278:                              ;   in Loop: Header=BB0_110 Depth=3
	v_cmp_eq_u16_sdwa s28, v83, v40 src0_sel:BYTE_0 src1_sel:DWORD
	s_mov_b32 s25, -1
	s_and_saveexec_b32 s27, s28
; %bb.279:                              ;   in Loop: Header=BB0_110 Depth=3
	s_xor_b32 s25, exec_lo, -1
; %bb.280:                              ;   in Loop: Header=BB0_110 Depth=3
	s_or_b32 exec_lo, exec_lo, s27
	s_and_b32 s25, s25, exec_lo
	s_or_saveexec_b32 s26, s26
	v_mov_b32_e32 v96, 0x7f800001
	s_xor_b32 exec_lo, exec_lo, s26
	s_cbranch_execnz .LBB0_447
.LBB0_281:                              ;   in Loop: Header=BB0_110 Depth=3
	s_or_b32 exec_lo, exec_lo, s26
	s_and_saveexec_b32 s26, s25
	s_cbranch_execz .LBB0_283
.LBB0_282:                              ;   in Loop: Header=BB0_110 Depth=3
	v_and_b32_e32 v96, 3, v83
	v_bfe_u32 v73, v83, 2, 5
	v_lshlrev_b32_e32 v74, 24, v83
	v_ffbh_u32_e32 v97, v96
	v_cmp_eq_u32_e32 vcc_lo, 0, v73
	v_min_u32_e32 v97, 32, v97
	v_subrev_nc_u32_e32 v72, 29, v97
	v_sub_nc_u32_e32 v97, 30, v97
	v_lshlrev_b32_e32 v72, v72, v83
	v_cndmask_b32_e32 v97, v73, v97, vcc_lo
	v_and_b32_e32 v72, 3, v72
	v_lshl_add_u32 v97, v97, 23, 0x37800000
	v_cndmask_b32_e32 v96, v96, v72, vcc_lo
	v_and_b32_e32 v72, 0x80000000, v74
	v_lshlrev_b32_e32 v96, 21, v96
	v_or3_b32 v96, v72, v97, v96
.LBB0_283:                              ;   in Loop: Header=BB0_110 Depth=3
	s_or_b32 exec_lo, exec_lo, s26
	v_max_f32_e32 v96, v96, v96
	v_max_f32_e32 v22, v22, v22
	;; [unrolled: 1-line block ×3, first 2 shown]
.LBB0_284:                              ;   in Loop: Header=BB0_110 Depth=3
	s_andn2_saveexec_b32 s12, s12
	s_cbranch_execz .LBB0_298
; %bb.285:                              ;   in Loop: Header=BB0_110 Depth=3
	v_cmp_gt_i16_sdwa s26, v21, v119 src0_sel:BYTE_0 src1_sel:DWORD
	s_mov_b32 s25, 0
	s_and_saveexec_b32 s27, s26
	s_xor_b32 s26, exec_lo, s27
	s_cbranch_execz .LBB0_448
; %bb.286:                              ;   in Loop: Header=BB0_110 Depth=3
	v_cmp_eq_u16_sdwa s28, v21, v40 src0_sel:BYTE_0 src1_sel:DWORD
	s_mov_b32 s25, -1
	s_and_saveexec_b32 s27, s28
; %bb.287:                              ;   in Loop: Header=BB0_110 Depth=3
	s_xor_b32 s25, exec_lo, -1
; %bb.288:                              ;   in Loop: Header=BB0_110 Depth=3
	s_or_b32 exec_lo, exec_lo, s27
	s_and_b32 s25, s25, exec_lo
	s_or_saveexec_b32 s26, s26
	v_mov_b32_e32 v22, 0x7f800001
	s_xor_b32 exec_lo, exec_lo, s26
	s_cbranch_execnz .LBB0_449
.LBB0_289:                              ;   in Loop: Header=BB0_110 Depth=3
	s_or_b32 exec_lo, exec_lo, s26
	s_and_saveexec_b32 s26, s25
	s_cbranch_execz .LBB0_291
.LBB0_290:                              ;   in Loop: Header=BB0_110 Depth=3
	v_and_b32_e32 v22, 3, v21
	v_bfe_u32 v72, v21, 2, 5
	v_lshlrev_b32_e32 v73, 24, v21
	v_ffbh_u32_e32 v96, v22
	v_cmp_eq_u32_e32 vcc_lo, 0, v72
	v_min_u32_e32 v96, 32, v96
	v_subrev_nc_u32_e32 v97, 29, v96
	v_sub_nc_u32_e32 v96, 30, v96
	v_lshlrev_b32_e32 v97, v97, v21
	v_cndmask_b32_e32 v96, v72, v96, vcc_lo
	v_and_b32_e32 v97, 3, v97
	v_lshl_add_u32 v96, v96, 23, 0x37800000
	v_cndmask_b32_e32 v22, v22, v97, vcc_lo
	v_and_b32_e32 v97, 0x80000000, v73
	v_lshlrev_b32_e32 v22, 21, v22
	v_or3_b32 v22, v97, v96, v22
.LBB0_291:                              ;   in Loop: Header=BB0_110 Depth=3
	s_or_b32 exec_lo, exec_lo, s26
	v_cmp_gt_i16_sdwa s26, v83, v119 src0_sel:BYTE_0 src1_sel:DWORD
	s_mov_b32 s25, 0
	s_and_saveexec_b32 s27, s26
	s_xor_b32 s26, exec_lo, s27
	s_cbranch_execz .LBB0_450
; %bb.292:                              ;   in Loop: Header=BB0_110 Depth=3
	v_cmp_eq_u16_sdwa s28, v83, v40 src0_sel:BYTE_0 src1_sel:DWORD
	s_mov_b32 s25, -1
	s_and_saveexec_b32 s27, s28
; %bb.293:                              ;   in Loop: Header=BB0_110 Depth=3
	s_xor_b32 s25, exec_lo, -1
; %bb.294:                              ;   in Loop: Header=BB0_110 Depth=3
	s_or_b32 exec_lo, exec_lo, s27
	s_and_b32 s25, s25, exec_lo
	s_or_saveexec_b32 s26, s26
	v_mov_b32_e32 v96, 0x7f800001
	s_xor_b32 exec_lo, exec_lo, s26
	s_cbranch_execnz .LBB0_451
.LBB0_295:                              ;   in Loop: Header=BB0_110 Depth=3
	s_or_b32 exec_lo, exec_lo, s26
	s_and_saveexec_b32 s26, s25
	s_cbranch_execz .LBB0_297
.LBB0_296:                              ;   in Loop: Header=BB0_110 Depth=3
	v_and_b32_e32 v96, 3, v83
	v_bfe_u32 v73, v83, 2, 5
	v_lshlrev_b32_e32 v74, 24, v83
	v_ffbh_u32_e32 v97, v96
	v_cmp_eq_u32_e32 vcc_lo, 0, v73
	v_min_u32_e32 v97, 32, v97
	v_subrev_nc_u32_e32 v72, 29, v97
	v_sub_nc_u32_e32 v97, 30, v97
	v_lshlrev_b32_e32 v72, v72, v83
	v_cndmask_b32_e32 v97, v73, v97, vcc_lo
	v_and_b32_e32 v72, 3, v72
	v_lshl_add_u32 v97, v97, 23, 0x37800000
	v_cndmask_b32_e32 v96, v96, v72, vcc_lo
	v_and_b32_e32 v72, 0x80000000, v74
	v_lshlrev_b32_e32 v96, 21, v96
	v_or3_b32 v96, v72, v97, v96
.LBB0_297:                              ;   in Loop: Header=BB0_110 Depth=3
	s_or_b32 exec_lo, exec_lo, s26
	v_max_f32_e32 v96, v96, v96
	v_max_f32_e32 v22, v22, v22
	v_min_f32_e32 v22, v22, v96
.LBB0_298:                              ;   in Loop: Header=BB0_110 Depth=3
	s_or_b32 exec_lo, exec_lo, s12
	v_and_b32_e32 v96, 0x7f800000, v22
	v_cmp_ne_u32_e32 vcc_lo, 0x7f800000, v96
	v_mov_b32_e32 v96, 0x80
	s_and_saveexec_b32 s25, vcc_lo
	s_cbranch_execz .LBB0_306
; %bb.299:                              ;   in Loop: Header=BB0_110 Depth=3
	v_mov_b32_e32 v96, 0
	s_mov_b32 s26, exec_lo
	v_cmpx_ne_u32_e32 0, v22
	s_cbranch_execz .LBB0_305
; %bb.300:                              ;   in Loop: Header=BB0_110 Depth=3
	v_bfe_u32 v96, v22, 23, 8
	v_and_b32_e32 v97, 0x7fffff, v22
	v_sub_nc_u32_e32 v72, 0x70, v96
	v_cmp_gt_u32_e32 vcc_lo, 0x71, v96
	v_or_b32_e32 v73, 0x800000, v97
	v_cndmask_b32_e32 v72, 0, v72, vcc_lo
	v_cmp_eq_u32_e32 vcc_lo, 0, v96
	v_add_nc_u32_e32 v96, 0xffffff91, v96
	v_cndmask_b32_e64 v72, v72, 0x6f, vcc_lo
	v_cndmask_b32_e32 v97, v73, v97, vcc_lo
	v_cndmask_b32_e64 v96, v96, 0xffffff92, vcc_lo
	v_lshl_add_u32 v73, 0x200000, v72, -1
	v_lshrrev_b32_e32 v74, v72, v97
	v_lshlrev_b32_e64 v76, v72, 0x100000
	v_add_nc_u32_e32 v72, v72, v96
	v_and_b32_e32 v97, v73, v97
	v_bfe_u32 v75, v74, 21, 1
	v_cmp_eq_u32_e64 s12, v97, v76
	v_add_nc_u32_e32 v73, -1, v75
	v_cndmask_b32_e64 v97, 0, v73, s12
	v_lshrrev_b32_e32 v73, 23, v74
	s_mov_b32 s12, exec_lo
	v_add_nc_u32_e32 v97, v97, v74
	v_xor_b32_e32 v73, 1, v73
	v_and_b32_e32 v96, 0x1fffff, v97
	v_add_nc_u32_e32 v97, v96, v74
                                        ; implicit-def: $vgpr96
	v_cmpx_ne_u32_e64 v72, v73
	s_xor_b32 s12, exec_lo, s12
; %bb.301:                              ;   in Loop: Header=BB0_110 Depth=3
	v_cmp_lt_u32_e32 vcc_lo, 0xffffff, v97
	v_sub_nc_u32_e32 v96, v72, v73
	v_cndmask_b32_e64 v72, 0, 1, vcc_lo
	v_add_co_ci_u32_e64 v96, null, 0, v96, vcc_lo
	v_lshrrev_b32_e32 v97, v72, v97
; %bb.302:                              ;   in Loop: Header=BB0_110 Depth=3
	s_andn2_saveexec_b32 s12, s12
; %bb.303:                              ;   in Loop: Header=BB0_110 Depth=3
	v_bfe_u32 v96, v97, 23, 1
; %bb.304:                              ;   in Loop: Header=BB0_110 Depth=3
	s_or_b32 exec_lo, exec_lo, s12
	v_lshrrev_b32_e32 v97, 21, v97
	v_min_i32_e32 v72, 31, v96
	v_cmp_gt_i32_e32 vcc_lo, 32, v96
	v_and_b32_sdwa v22, v22, v40 dst_sel:DWORD dst_unused:UNUSED_PAD src0_sel:BYTE_3 src1_sel:DWORD
	v_lshlrev_b32_e32 v72, 2, v72
	v_cndmask_b32_e32 v97, 3, v97, vcc_lo
	v_and_b32_e32 v72, 0xfc, v72
	v_and_b32_e32 v73, 3, v97
	v_or_b32_e32 v96, v96, v97
	v_or3_b32 v22, v72, v22, v73
	v_cmp_ne_u32_e32 vcc_lo, 0, v96
	v_cndmask_b32_e32 v96, 0, v22, vcc_lo
.LBB0_305:                              ;   in Loop: Header=BB0_110 Depth=3
	s_or_b32 exec_lo, exec_lo, s26
.LBB0_306:                              ;   in Loop: Header=BB0_110 Depth=3
	s_or_b32 exec_lo, exec_lo, s25
                                        ; implicit-def: $vgpr22
	s_and_saveexec_b32 s12, s9
	s_xor_b32 s12, exec_lo, s12
	s_cbranch_execz .LBB0_320
; %bb.307:                              ;   in Loop: Header=BB0_110 Depth=3
	v_cmp_gt_i16_sdwa s26, v21, v119 src0_sel:BYTE_1 src1_sel:DWORD
	s_mov_b32 s25, 0
	s_and_saveexec_b32 s27, s26
	s_xor_b32 s26, exec_lo, s27
	s_cbranch_execz .LBB0_452
; %bb.308:                              ;   in Loop: Header=BB0_110 Depth=3
	v_cmp_eq_u16_sdwa s28, v21, v40 src0_sel:BYTE_1 src1_sel:DWORD
	s_mov_b32 s25, -1
	s_and_saveexec_b32 s27, s28
; %bb.309:                              ;   in Loop: Header=BB0_110 Depth=3
	s_xor_b32 s25, exec_lo, -1
; %bb.310:                              ;   in Loop: Header=BB0_110 Depth=3
	s_or_b32 exec_lo, exec_lo, s27
	s_and_b32 s25, s25, exec_lo
	s_or_saveexec_b32 s26, s26
	v_mov_b32_e32 v22, 0x7f800001
	s_xor_b32 exec_lo, exec_lo, s26
	s_cbranch_execnz .LBB0_453
.LBB0_311:                              ;   in Loop: Header=BB0_110 Depth=3
	s_or_b32 exec_lo, exec_lo, s26
	s_and_saveexec_b32 s26, s25
	s_cbranch_execz .LBB0_313
.LBB0_312:                              ;   in Loop: Header=BB0_110 Depth=3
	v_and_b32_sdwa v22, v41, v21 dst_sel:DWORD dst_unused:UNUSED_PAD src0_sel:DWORD src1_sel:BYTE_1
	v_and_b32_e32 v97, 3, v22
	v_bfe_u32 v74, v22, 2, 5
	v_ffbh_u32_e32 v72, v97
	v_cmp_eq_u32_e32 vcc_lo, 0, v74
	v_min_u32_e32 v72, 32, v72
	v_subrev_nc_u32_e32 v73, 29, v72
	v_sub_nc_u32_e32 v72, 30, v72
	v_lshlrev_b32_e32 v22, v73, v22
	v_lshlrev_b32_e32 v73, 16, v21
	v_cndmask_b32_e32 v72, v74, v72, vcc_lo
	v_and_b32_e32 v22, 3, v22
	v_lshl_add_u32 v72, v72, 23, 0x37800000
	v_cndmask_b32_e32 v22, v97, v22, vcc_lo
	v_and_b32_e32 v97, 0x80000000, v73
	v_lshlrev_b32_e32 v22, 21, v22
	v_or3_b32 v22, v97, v72, v22
.LBB0_313:                              ;   in Loop: Header=BB0_110 Depth=3
	s_or_b32 exec_lo, exec_lo, s26
	v_cmp_gt_i16_sdwa s26, v83, v119 src0_sel:BYTE_1 src1_sel:DWORD
	s_mov_b32 s25, 0
	s_and_saveexec_b32 s27, s26
	s_xor_b32 s26, exec_lo, s27
	s_cbranch_execz .LBB0_454
; %bb.314:                              ;   in Loop: Header=BB0_110 Depth=3
	v_cmp_eq_u16_sdwa s28, v83, v40 src0_sel:BYTE_1 src1_sel:DWORD
	s_mov_b32 s25, -1
	s_and_saveexec_b32 s27, s28
; %bb.315:                              ;   in Loop: Header=BB0_110 Depth=3
	s_xor_b32 s25, exec_lo, -1
; %bb.316:                              ;   in Loop: Header=BB0_110 Depth=3
	s_or_b32 exec_lo, exec_lo, s27
	s_and_b32 s25, s25, exec_lo
	s_or_saveexec_b32 s26, s26
	v_mov_b32_e32 v97, 0x7f800001
	s_xor_b32 exec_lo, exec_lo, s26
	s_cbranch_execnz .LBB0_455
.LBB0_317:                              ;   in Loop: Header=BB0_110 Depth=3
	s_or_b32 exec_lo, exec_lo, s26
	s_and_saveexec_b32 s26, s25
	s_cbranch_execz .LBB0_319
.LBB0_318:                              ;   in Loop: Header=BB0_110 Depth=3
	v_and_b32_sdwa v97, v41, v83 dst_sel:DWORD dst_unused:UNUSED_PAD src0_sel:DWORD src1_sel:BYTE_1
	v_and_b32_e32 v72, 3, v97
	v_bfe_u32 v75, v97, 2, 5
	v_ffbh_u32_e32 v73, v72
	v_cmp_eq_u32_e32 vcc_lo, 0, v75
	v_min_u32_e32 v73, 32, v73
	v_subrev_nc_u32_e32 v74, 29, v73
	v_sub_nc_u32_e32 v73, 30, v73
	v_lshlrev_b32_e32 v97, v74, v97
	v_lshlrev_b32_e32 v74, 16, v83
	v_cndmask_b32_e32 v73, v75, v73, vcc_lo
	v_and_b32_e32 v97, 3, v97
	v_lshl_add_u32 v73, v73, 23, 0x37800000
	v_cndmask_b32_e32 v97, v72, v97, vcc_lo
	v_and_b32_e32 v72, 0x80000000, v74
	v_lshlrev_b32_e32 v97, 21, v97
	v_or3_b32 v97, v72, v73, v97
.LBB0_319:                              ;   in Loop: Header=BB0_110 Depth=3
	s_or_b32 exec_lo, exec_lo, s26
	v_max_f32_e32 v97, v97, v97
	v_max_f32_e32 v22, v22, v22
	;; [unrolled: 1-line block ×3, first 2 shown]
	s_andn2_saveexec_b32 s12, s12
	s_cbranch_execz .LBB0_334
	s_branch .LBB0_321
.LBB0_320:                              ;   in Loop: Header=BB0_110 Depth=3
	s_andn2_saveexec_b32 s12, s12
	s_cbranch_execz .LBB0_334
.LBB0_321:                              ;   in Loop: Header=BB0_110 Depth=3
	v_cmp_gt_i16_sdwa s26, v21, v119 src0_sel:BYTE_1 src1_sel:DWORD
	s_mov_b32 s25, 0
	s_and_saveexec_b32 s27, s26
	s_xor_b32 s26, exec_lo, s27
	s_cbranch_execz .LBB0_456
; %bb.322:                              ;   in Loop: Header=BB0_110 Depth=3
	v_cmp_eq_u16_sdwa s28, v21, v40 src0_sel:BYTE_1 src1_sel:DWORD
	s_mov_b32 s25, -1
	s_and_saveexec_b32 s27, s28
; %bb.323:                              ;   in Loop: Header=BB0_110 Depth=3
	s_xor_b32 s25, exec_lo, -1
; %bb.324:                              ;   in Loop: Header=BB0_110 Depth=3
	s_or_b32 exec_lo, exec_lo, s27
	s_and_b32 s25, s25, exec_lo
	s_or_saveexec_b32 s26, s26
	v_mov_b32_e32 v22, 0x7f800001
	s_xor_b32 exec_lo, exec_lo, s26
	s_cbranch_execnz .LBB0_457
.LBB0_325:                              ;   in Loop: Header=BB0_110 Depth=3
	s_or_b32 exec_lo, exec_lo, s26
	s_and_saveexec_b32 s26, s25
	s_cbranch_execz .LBB0_327
.LBB0_326:                              ;   in Loop: Header=BB0_110 Depth=3
	v_and_b32_sdwa v22, v41, v21 dst_sel:DWORD dst_unused:UNUSED_PAD src0_sel:DWORD src1_sel:BYTE_1
	v_and_b32_e32 v97, 3, v22
	v_bfe_u32 v74, v22, 2, 5
	v_ffbh_u32_e32 v72, v97
	v_cmp_eq_u32_e32 vcc_lo, 0, v74
	v_min_u32_e32 v72, 32, v72
	v_subrev_nc_u32_e32 v73, 29, v72
	v_sub_nc_u32_e32 v72, 30, v72
	v_lshlrev_b32_e32 v22, v73, v22
	v_lshlrev_b32_e32 v73, 16, v21
	v_cndmask_b32_e32 v72, v74, v72, vcc_lo
	v_and_b32_e32 v22, 3, v22
	v_lshl_add_u32 v72, v72, 23, 0x37800000
	v_cndmask_b32_e32 v22, v97, v22, vcc_lo
	v_and_b32_e32 v97, 0x80000000, v73
	v_lshlrev_b32_e32 v22, 21, v22
	v_or3_b32 v22, v97, v72, v22
.LBB0_327:                              ;   in Loop: Header=BB0_110 Depth=3
	s_or_b32 exec_lo, exec_lo, s26
	v_cmp_gt_i16_sdwa s26, v83, v119 src0_sel:BYTE_1 src1_sel:DWORD
	s_mov_b32 s25, 0
	s_and_saveexec_b32 s27, s26
	s_xor_b32 s26, exec_lo, s27
	s_cbranch_execz .LBB0_458
; %bb.328:                              ;   in Loop: Header=BB0_110 Depth=3
	v_cmp_eq_u16_sdwa s28, v83, v40 src0_sel:BYTE_1 src1_sel:DWORD
	s_mov_b32 s25, -1
	s_and_saveexec_b32 s27, s28
; %bb.329:                              ;   in Loop: Header=BB0_110 Depth=3
	s_xor_b32 s25, exec_lo, -1
; %bb.330:                              ;   in Loop: Header=BB0_110 Depth=3
	s_or_b32 exec_lo, exec_lo, s27
	s_and_b32 s25, s25, exec_lo
	s_or_saveexec_b32 s26, s26
	v_mov_b32_e32 v97, 0x7f800001
	s_xor_b32 exec_lo, exec_lo, s26
	s_cbranch_execnz .LBB0_459
.LBB0_331:                              ;   in Loop: Header=BB0_110 Depth=3
	s_or_b32 exec_lo, exec_lo, s26
	s_and_saveexec_b32 s26, s25
	s_cbranch_execz .LBB0_333
.LBB0_332:                              ;   in Loop: Header=BB0_110 Depth=3
	v_and_b32_sdwa v97, v41, v83 dst_sel:DWORD dst_unused:UNUSED_PAD src0_sel:DWORD src1_sel:BYTE_1
	v_and_b32_e32 v72, 3, v97
	v_bfe_u32 v75, v97, 2, 5
	v_ffbh_u32_e32 v73, v72
	v_cmp_eq_u32_e32 vcc_lo, 0, v75
	v_min_u32_e32 v73, 32, v73
	v_subrev_nc_u32_e32 v74, 29, v73
	v_sub_nc_u32_e32 v73, 30, v73
	v_lshlrev_b32_e32 v97, v74, v97
	v_lshlrev_b32_e32 v74, 16, v83
	v_cndmask_b32_e32 v73, v75, v73, vcc_lo
	v_and_b32_e32 v97, 3, v97
	v_lshl_add_u32 v73, v73, 23, 0x37800000
	v_cndmask_b32_e32 v97, v72, v97, vcc_lo
	v_and_b32_e32 v72, 0x80000000, v74
	v_lshlrev_b32_e32 v97, 21, v97
	v_or3_b32 v97, v72, v73, v97
.LBB0_333:                              ;   in Loop: Header=BB0_110 Depth=3
	s_or_b32 exec_lo, exec_lo, s26
	v_max_f32_e32 v97, v97, v97
	v_max_f32_e32 v22, v22, v22
	v_min_f32_e32 v22, v22, v97
.LBB0_334:                              ;   in Loop: Header=BB0_110 Depth=3
	s_or_b32 exec_lo, exec_lo, s12
	v_and_b32_e32 v97, 0x7f800000, v22
	v_cmp_ne_u32_e32 vcc_lo, 0x7f800000, v97
	v_mov_b32_e32 v97, 0x8000
	s_and_saveexec_b32 s25, vcc_lo
	s_cbranch_execz .LBB0_342
; %bb.335:                              ;   in Loop: Header=BB0_110 Depth=3
	v_mov_b32_e32 v97, 0
	s_mov_b32 s26, exec_lo
	v_cmpx_ne_u32_e32 0, v22
	s_cbranch_execz .LBB0_341
; %bb.336:                              ;   in Loop: Header=BB0_110 Depth=3
	v_bfe_u32 v97, v22, 23, 8
	v_and_b32_e32 v72, 0x7fffff, v22
	v_sub_nc_u32_e32 v73, 0x70, v97
	v_cmp_gt_u32_e32 vcc_lo, 0x71, v97
	v_or_b32_e32 v74, 0x800000, v72
	v_cndmask_b32_e32 v73, 0, v73, vcc_lo
	v_cmp_eq_u32_e32 vcc_lo, 0, v97
	v_add_nc_u32_e32 v97, 0xffffff91, v97
	v_cndmask_b32_e64 v73, v73, 0x6f, vcc_lo
	v_cndmask_b32_e32 v72, v74, v72, vcc_lo
	v_cndmask_b32_e64 v97, v97, 0xffffff92, vcc_lo
	v_lshl_add_u32 v74, 0x200000, v73, -1
	v_lshrrev_b32_e32 v75, v73, v72
	v_lshlrev_b32_e64 v77, v73, 0x100000
	v_add_nc_u32_e32 v73, v73, v97
	v_and_b32_e32 v72, v74, v72
	v_bfe_u32 v76, v75, 21, 1
	v_cmp_eq_u32_e64 s12, v72, v77
	v_add_nc_u32_e32 v74, -1, v76
	v_cndmask_b32_e64 v72, 0, v74, s12
	v_lshrrev_b32_e32 v74, 23, v75
	s_mov_b32 s12, exec_lo
	v_add_nc_u32_e32 v72, v72, v75
	v_xor_b32_e32 v74, 1, v74
	v_and_b32_e32 v97, 0x1fffff, v72
	v_add_nc_u32_e32 v72, v97, v75
                                        ; implicit-def: $vgpr97
	v_cmpx_ne_u32_e64 v73, v74
	s_xor_b32 s12, exec_lo, s12
; %bb.337:                              ;   in Loop: Header=BB0_110 Depth=3
	v_cmp_lt_u32_e32 vcc_lo, 0xffffff, v72
	v_sub_nc_u32_e32 v97, v73, v74
	v_cndmask_b32_e64 v73, 0, 1, vcc_lo
	v_add_co_ci_u32_e64 v97, null, 0, v97, vcc_lo
	v_lshrrev_b32_e32 v72, v73, v72
; %bb.338:                              ;   in Loop: Header=BB0_110 Depth=3
	s_andn2_saveexec_b32 s12, s12
; %bb.339:                              ;   in Loop: Header=BB0_110 Depth=3
	v_bfe_u32 v97, v72, 23, 1
; %bb.340:                              ;   in Loop: Header=BB0_110 Depth=3
	s_or_b32 exec_lo, exec_lo, s12
	v_lshrrev_b32_e32 v72, 21, v72
	v_min_i32_e32 v73, 31, v97
	v_cmp_gt_i32_e32 vcc_lo, 32, v97
	v_and_b32_sdwa v22, v22, v40 dst_sel:DWORD dst_unused:UNUSED_PAD src0_sel:BYTE_3 src1_sel:DWORD
	v_lshlrev_b32_e32 v73, 2, v73
	v_cndmask_b32_e32 v72, 3, v72, vcc_lo
	v_and_b32_e32 v73, 0xfc, v73
	v_and_b32_e32 v74, 3, v72
	v_or_b32_e32 v97, v97, v72
	v_or3_b32 v22, v22, v73, v74
	v_cmp_ne_u32_e32 vcc_lo, 0, v97
	v_lshlrev_b32_e32 v22, 8, v22
	v_cndmask_b32_e32 v97, 0, v22, vcc_lo
.LBB0_341:                              ;   in Loop: Header=BB0_110 Depth=3
	s_or_b32 exec_lo, exec_lo, s26
.LBB0_342:                              ;   in Loop: Header=BB0_110 Depth=3
	s_or_b32 exec_lo, exec_lo, s25
                                        ; implicit-def: $vgpr22
	s_and_saveexec_b32 s12, s9
	s_xor_b32 s12, exec_lo, s12
	s_cbranch_execz .LBB0_356
; %bb.343:                              ;   in Loop: Header=BB0_110 Depth=3
	v_and_b32_sdwa v72, v21, v42 dst_sel:DWORD dst_unused:UNUSED_PAD src0_sel:WORD_1 src1_sel:DWORD
	s_mov_b32 s25, 0
	s_mov_b32 s26, exec_lo
	v_cmpx_lt_i16_e32 0x7f, v72
	s_xor_b32 s26, exec_lo, s26
	s_cbranch_execz .LBB0_460
; %bb.344:                              ;   in Loop: Header=BB0_110 Depth=3
	s_mov_b32 s25, -1
	s_mov_b32 s27, exec_lo
	v_cmpx_eq_u16_e32 0x80, v72
; %bb.345:                              ;   in Loop: Header=BB0_110 Depth=3
	s_xor_b32 s25, exec_lo, -1
; %bb.346:                              ;   in Loop: Header=BB0_110 Depth=3
	s_or_b32 exec_lo, exec_lo, s27
	s_and_b32 s25, s25, exec_lo
                                        ; implicit-def: $vgpr72
	s_or_saveexec_b32 s26, s26
	v_mov_b32_e32 v22, 0x7f800001
	s_xor_b32 exec_lo, exec_lo, s26
	s_cbranch_execnz .LBB0_461
.LBB0_347:                              ;   in Loop: Header=BB0_110 Depth=3
	s_or_b32 exec_lo, exec_lo, s26
	s_and_saveexec_b32 s26, s25
	s_cbranch_execz .LBB0_349
.LBB0_348:                              ;   in Loop: Header=BB0_110 Depth=3
	v_bfe_u32 v22, v21, 16, 2
	v_bfe_u32 v74, v21, 18, 5
	v_lshlrev_b32_sdwa v75, v43, v21 dst_sel:DWORD dst_unused:UNUSED_PAD src0_sel:DWORD src1_sel:WORD_1
	v_ffbh_u32_e32 v72, v22
	v_cmp_eq_u32_e32 vcc_lo, 0, v74
	v_min_u32_e32 v72, 32, v72
	v_subrev_nc_u32_e32 v73, 29, v72
	v_sub_nc_u32_e32 v72, 30, v72
	v_lshlrev_b32_sdwa v73, v73, v21 dst_sel:DWORD dst_unused:UNUSED_PAD src0_sel:DWORD src1_sel:WORD_1
	v_cndmask_b32_e32 v72, v74, v72, vcc_lo
	v_and_b32_e32 v73, 3, v73
	v_lshl_add_u32 v72, v72, 23, 0x37800000
	v_cndmask_b32_e32 v22, v22, v73, vcc_lo
	v_and_b32_e32 v73, 0x80000000, v75
	v_lshlrev_b32_e32 v22, 21, v22
	v_or3_b32 v22, v73, v72, v22
.LBB0_349:                              ;   in Loop: Header=BB0_110 Depth=3
	s_or_b32 exec_lo, exec_lo, s26
	v_and_b32_sdwa v73, v83, v42 dst_sel:DWORD dst_unused:UNUSED_PAD src0_sel:WORD_1 src1_sel:DWORD
	s_mov_b32 s25, 0
	s_mov_b32 s26, exec_lo
	v_cmpx_lt_i16_e32 0x7f, v73
	s_xor_b32 s26, exec_lo, s26
	s_cbranch_execz .LBB0_462
; %bb.350:                              ;   in Loop: Header=BB0_110 Depth=3
	s_mov_b32 s25, -1
	s_mov_b32 s27, exec_lo
	v_cmpx_eq_u16_e32 0x80, v73
; %bb.351:                              ;   in Loop: Header=BB0_110 Depth=3
	s_xor_b32 s25, exec_lo, -1
; %bb.352:                              ;   in Loop: Header=BB0_110 Depth=3
	s_or_b32 exec_lo, exec_lo, s27
	s_and_b32 s25, s25, exec_lo
                                        ; implicit-def: $vgpr73
	s_or_saveexec_b32 s26, s26
	v_mov_b32_e32 v72, 0x7f800001
	s_xor_b32 exec_lo, exec_lo, s26
	s_cbranch_execnz .LBB0_463
.LBB0_353:                              ;   in Loop: Header=BB0_110 Depth=3
	s_or_b32 exec_lo, exec_lo, s26
	s_and_saveexec_b32 s26, s25
	s_cbranch_execz .LBB0_355
.LBB0_354:                              ;   in Loop: Header=BB0_110 Depth=3
	v_bfe_u32 v72, v83, 16, 2
	v_bfe_u32 v75, v83, 18, 5
	v_lshlrev_b32_sdwa v76, v43, v83 dst_sel:DWORD dst_unused:UNUSED_PAD src0_sel:DWORD src1_sel:WORD_1
	v_ffbh_u32_e32 v73, v72
	v_cmp_eq_u32_e32 vcc_lo, 0, v75
	v_min_u32_e32 v73, 32, v73
	v_subrev_nc_u32_e32 v74, 29, v73
	v_sub_nc_u32_e32 v73, 30, v73
	v_lshlrev_b32_sdwa v74, v74, v83 dst_sel:DWORD dst_unused:UNUSED_PAD src0_sel:DWORD src1_sel:WORD_1
	v_cndmask_b32_e32 v73, v75, v73, vcc_lo
	v_and_b32_e32 v74, 3, v74
	v_lshl_add_u32 v73, v73, 23, 0x37800000
	v_cndmask_b32_e32 v72, v72, v74, vcc_lo
	v_and_b32_e32 v74, 0x80000000, v76
	v_lshlrev_b32_e32 v72, 21, v72
	v_or3_b32 v72, v74, v73, v72
.LBB0_355:                              ;   in Loop: Header=BB0_110 Depth=3
	s_or_b32 exec_lo, exec_lo, s26
	v_max_f32_e32 v72, v72, v72
	v_max_f32_e32 v22, v22, v22
	;; [unrolled: 1-line block ×3, first 2 shown]
	s_andn2_saveexec_b32 s12, s12
	s_cbranch_execz .LBB0_370
	s_branch .LBB0_357
.LBB0_356:                              ;   in Loop: Header=BB0_110 Depth=3
	s_andn2_saveexec_b32 s12, s12
	s_cbranch_execz .LBB0_370
.LBB0_357:                              ;   in Loop: Header=BB0_110 Depth=3
	v_and_b32_sdwa v72, v21, v42 dst_sel:DWORD dst_unused:UNUSED_PAD src0_sel:WORD_1 src1_sel:DWORD
	s_mov_b32 s25, 0
	s_mov_b32 s26, exec_lo
	v_cmpx_lt_i16_e32 0x7f, v72
	s_xor_b32 s26, exec_lo, s26
	s_cbranch_execz .LBB0_464
; %bb.358:                              ;   in Loop: Header=BB0_110 Depth=3
	s_mov_b32 s25, -1
	s_mov_b32 s27, exec_lo
	v_cmpx_eq_u16_e32 0x80, v72
; %bb.359:                              ;   in Loop: Header=BB0_110 Depth=3
	s_xor_b32 s25, exec_lo, -1
; %bb.360:                              ;   in Loop: Header=BB0_110 Depth=3
	s_or_b32 exec_lo, exec_lo, s27
	s_and_b32 s25, s25, exec_lo
                                        ; implicit-def: $vgpr72
	s_or_saveexec_b32 s26, s26
	v_mov_b32_e32 v22, 0x7f800001
	s_xor_b32 exec_lo, exec_lo, s26
	s_cbranch_execnz .LBB0_465
.LBB0_361:                              ;   in Loop: Header=BB0_110 Depth=3
	s_or_b32 exec_lo, exec_lo, s26
	s_and_saveexec_b32 s26, s25
	s_cbranch_execz .LBB0_363
.LBB0_362:                              ;   in Loop: Header=BB0_110 Depth=3
	v_bfe_u32 v22, v21, 16, 2
	v_bfe_u32 v74, v21, 18, 5
	v_lshlrev_b32_sdwa v75, v43, v21 dst_sel:DWORD dst_unused:UNUSED_PAD src0_sel:DWORD src1_sel:WORD_1
	v_ffbh_u32_e32 v72, v22
	v_cmp_eq_u32_e32 vcc_lo, 0, v74
	v_min_u32_e32 v72, 32, v72
	v_subrev_nc_u32_e32 v73, 29, v72
	v_sub_nc_u32_e32 v72, 30, v72
	v_lshlrev_b32_sdwa v73, v73, v21 dst_sel:DWORD dst_unused:UNUSED_PAD src0_sel:DWORD src1_sel:WORD_1
	v_cndmask_b32_e32 v72, v74, v72, vcc_lo
	v_and_b32_e32 v73, 3, v73
	v_lshl_add_u32 v72, v72, 23, 0x37800000
	v_cndmask_b32_e32 v22, v22, v73, vcc_lo
	v_and_b32_e32 v73, 0x80000000, v75
	v_lshlrev_b32_e32 v22, 21, v22
	v_or3_b32 v22, v73, v72, v22
.LBB0_363:                              ;   in Loop: Header=BB0_110 Depth=3
	s_or_b32 exec_lo, exec_lo, s26
	v_and_b32_sdwa v73, v83, v42 dst_sel:DWORD dst_unused:UNUSED_PAD src0_sel:WORD_1 src1_sel:DWORD
	s_mov_b32 s25, 0
	s_mov_b32 s26, exec_lo
	v_cmpx_lt_i16_e32 0x7f, v73
	s_xor_b32 s26, exec_lo, s26
	s_cbranch_execz .LBB0_466
; %bb.364:                              ;   in Loop: Header=BB0_110 Depth=3
	s_mov_b32 s25, -1
	s_mov_b32 s27, exec_lo
	v_cmpx_eq_u16_e32 0x80, v73
; %bb.365:                              ;   in Loop: Header=BB0_110 Depth=3
	s_xor_b32 s25, exec_lo, -1
; %bb.366:                              ;   in Loop: Header=BB0_110 Depth=3
	s_or_b32 exec_lo, exec_lo, s27
	s_and_b32 s25, s25, exec_lo
                                        ; implicit-def: $vgpr73
	s_or_saveexec_b32 s26, s26
	v_mov_b32_e32 v72, 0x7f800001
	s_xor_b32 exec_lo, exec_lo, s26
	s_cbranch_execnz .LBB0_467
.LBB0_367:                              ;   in Loop: Header=BB0_110 Depth=3
	s_or_b32 exec_lo, exec_lo, s26
	s_and_saveexec_b32 s26, s25
	s_cbranch_execz .LBB0_369
.LBB0_368:                              ;   in Loop: Header=BB0_110 Depth=3
	v_bfe_u32 v72, v83, 16, 2
	v_bfe_u32 v75, v83, 18, 5
	v_lshlrev_b32_sdwa v76, v43, v83 dst_sel:DWORD dst_unused:UNUSED_PAD src0_sel:DWORD src1_sel:WORD_1
	v_ffbh_u32_e32 v73, v72
	v_cmp_eq_u32_e32 vcc_lo, 0, v75
	v_min_u32_e32 v73, 32, v73
	v_subrev_nc_u32_e32 v74, 29, v73
	v_sub_nc_u32_e32 v73, 30, v73
	v_lshlrev_b32_sdwa v74, v74, v83 dst_sel:DWORD dst_unused:UNUSED_PAD src0_sel:DWORD src1_sel:WORD_1
	v_cndmask_b32_e32 v73, v75, v73, vcc_lo
	v_and_b32_e32 v74, 3, v74
	v_lshl_add_u32 v73, v73, 23, 0x37800000
	v_cndmask_b32_e32 v72, v72, v74, vcc_lo
	v_and_b32_e32 v74, 0x80000000, v76
	v_lshlrev_b32_e32 v72, 21, v72
	v_or3_b32 v72, v74, v73, v72
.LBB0_369:                              ;   in Loop: Header=BB0_110 Depth=3
	s_or_b32 exec_lo, exec_lo, s26
	v_max_f32_e32 v72, v72, v72
	v_max_f32_e32 v22, v22, v22
	v_min_f32_e32 v22, v22, v72
.LBB0_370:                              ;   in Loop: Header=BB0_110 Depth=3
	s_or_b32 exec_lo, exec_lo, s12
	v_and_b32_e32 v72, 0x7f800000, v22
	v_cmp_ne_u32_e32 vcc_lo, 0x7f800000, v72
	v_mov_b32_e32 v72, 0x80
	s_and_saveexec_b32 s25, vcc_lo
	s_cbranch_execz .LBB0_378
; %bb.371:                              ;   in Loop: Header=BB0_110 Depth=3
	v_mov_b32_e32 v72, 0
	s_mov_b32 s26, exec_lo
	v_cmpx_ne_u32_e32 0, v22
	s_cbranch_execz .LBB0_377
; %bb.372:                              ;   in Loop: Header=BB0_110 Depth=3
	v_bfe_u32 v72, v22, 23, 8
	v_and_b32_e32 v73, 0x7fffff, v22
	v_sub_nc_u32_e32 v74, 0x70, v72
	v_cmp_gt_u32_e32 vcc_lo, 0x71, v72
	v_or_b32_e32 v75, 0x800000, v73
	v_cndmask_b32_e32 v74, 0, v74, vcc_lo
	v_cmp_eq_u32_e32 vcc_lo, 0, v72
	v_add_nc_u32_e32 v72, 0xffffff91, v72
	v_cndmask_b32_e64 v74, v74, 0x6f, vcc_lo
	v_cndmask_b32_e32 v73, v75, v73, vcc_lo
	v_cndmask_b32_e64 v72, v72, 0xffffff92, vcc_lo
	v_lshl_add_u32 v75, 0x200000, v74, -1
	v_lshrrev_b32_e32 v76, v74, v73
	v_lshlrev_b32_e64 v78, v74, 0x100000
	v_add_nc_u32_e32 v74, v74, v72
	v_and_b32_e32 v73, v75, v73
	v_bfe_u32 v77, v76, 21, 1
	v_cmp_eq_u32_e64 s12, v73, v78
	v_add_nc_u32_e32 v75, -1, v77
	v_cndmask_b32_e64 v73, 0, v75, s12
	v_lshrrev_b32_e32 v75, 23, v76
	s_mov_b32 s12, exec_lo
	v_add_nc_u32_e32 v73, v73, v76
	v_xor_b32_e32 v75, 1, v75
	v_and_b32_e32 v72, 0x1fffff, v73
	v_add_nc_u32_e32 v73, v72, v76
                                        ; implicit-def: $vgpr72
	v_cmpx_ne_u32_e64 v74, v75
	s_xor_b32 s12, exec_lo, s12
; %bb.373:                              ;   in Loop: Header=BB0_110 Depth=3
	v_cmp_lt_u32_e32 vcc_lo, 0xffffff, v73
	v_sub_nc_u32_e32 v72, v74, v75
	v_cndmask_b32_e64 v74, 0, 1, vcc_lo
	v_add_co_ci_u32_e64 v72, null, 0, v72, vcc_lo
	v_lshrrev_b32_e32 v73, v74, v73
; %bb.374:                              ;   in Loop: Header=BB0_110 Depth=3
	s_andn2_saveexec_b32 s12, s12
; %bb.375:                              ;   in Loop: Header=BB0_110 Depth=3
	v_bfe_u32 v72, v73, 23, 1
; %bb.376:                              ;   in Loop: Header=BB0_110 Depth=3
	s_or_b32 exec_lo, exec_lo, s12
	v_lshrrev_b32_e32 v73, 21, v73
	v_min_i32_e32 v74, 31, v72
	v_cmp_gt_i32_e32 vcc_lo, 32, v72
	v_and_b32_sdwa v22, v22, v40 dst_sel:DWORD dst_unused:UNUSED_PAD src0_sel:BYTE_3 src1_sel:DWORD
	v_lshlrev_b32_e32 v74, 2, v74
	v_cndmask_b32_e32 v73, 3, v73, vcc_lo
	v_and_b32_e32 v74, 0xfc, v74
	v_and_b32_e32 v75, 3, v73
	v_or_b32_e32 v72, v72, v73
	v_or3_b32 v22, v74, v22, v75
	v_cmp_ne_u32_e32 vcc_lo, 0, v72
	v_cndmask_b32_e32 v72, 0, v22, vcc_lo
.LBB0_377:                              ;   in Loop: Header=BB0_110 Depth=3
	s_or_b32 exec_lo, exec_lo, s26
.LBB0_378:                              ;   in Loop: Header=BB0_110 Depth=3
	s_or_b32 exec_lo, exec_lo, s25
                                        ; implicit-def: $vgpr73
	s_and_saveexec_b32 s12, s9
	s_xor_b32 s12, exec_lo, s12
	s_cbranch_execz .LBB0_392
; %bb.379:                              ;   in Loop: Header=BB0_110 Depth=3
	v_cmp_gt_i16_sdwa s26, v21, v119 src0_sel:BYTE_3 src1_sel:DWORD
	s_mov_b32 s25, 0
	s_and_saveexec_b32 s27, s26
	s_xor_b32 s26, exec_lo, s27
	s_cbranch_execz .LBB0_468
; %bb.380:                              ;   in Loop: Header=BB0_110 Depth=3
	v_cmp_eq_u16_sdwa s28, v21, v40 src0_sel:BYTE_3 src1_sel:DWORD
	s_mov_b32 s25, -1
	s_and_saveexec_b32 s27, s28
; %bb.381:                              ;   in Loop: Header=BB0_110 Depth=3
	s_xor_b32 s25, exec_lo, -1
; %bb.382:                              ;   in Loop: Header=BB0_110 Depth=3
	s_or_b32 exec_lo, exec_lo, s27
	s_and_b32 s25, s25, exec_lo
	s_or_saveexec_b32 s26, s26
	v_mov_b32_e32 v22, 0x7f800001
	s_xor_b32 exec_lo, exec_lo, s26
	s_cbranch_execnz .LBB0_469
.LBB0_383:                              ;   in Loop: Header=BB0_110 Depth=3
	s_or_b32 exec_lo, exec_lo, s26
	s_and_saveexec_b32 s26, s25
	s_cbranch_execz .LBB0_385
.LBB0_384:                              ;   in Loop: Header=BB0_110 Depth=3
	v_bfe_u32 v22, v21, 24, 2
	v_bfe_u32 v75, v21, 26, 5
	v_ffbh_u32_e32 v73, v22
	v_cmp_eq_u32_e32 vcc_lo, 0, v75
	v_min_u32_e32 v73, 32, v73
	v_subrev_nc_u32_e32 v74, 29, v73
	v_sub_nc_u32_e32 v73, 30, v73
	v_lshlrev_b32_sdwa v74, v74, v21 dst_sel:DWORD dst_unused:UNUSED_PAD src0_sel:DWORD src1_sel:BYTE_3
	v_cndmask_b32_e32 v73, v75, v73, vcc_lo
	v_and_b32_e32 v21, 0x80000000, v21
	v_and_b32_e32 v74, 3, v74
	v_lshl_add_u32 v73, v73, 23, 0x37800000
	v_cndmask_b32_e32 v22, v22, v74, vcc_lo
	v_lshlrev_b32_e32 v22, 21, v22
	v_or3_b32 v22, v21, v73, v22
.LBB0_385:                              ;   in Loop: Header=BB0_110 Depth=3
	s_or_b32 exec_lo, exec_lo, s26
	v_cmp_gt_i16_sdwa s26, v83, v119 src0_sel:BYTE_3 src1_sel:DWORD
	s_mov_b32 s25, 0
	s_and_saveexec_b32 s27, s26
	s_xor_b32 s26, exec_lo, s27
	s_cbranch_execz .LBB0_470
; %bb.386:                              ;   in Loop: Header=BB0_110 Depth=3
	v_cmp_eq_u16_sdwa s28, v83, v40 src0_sel:BYTE_3 src1_sel:DWORD
	s_mov_b32 s25, -1
	s_and_saveexec_b32 s27, s28
; %bb.387:                              ;   in Loop: Header=BB0_110 Depth=3
	s_xor_b32 s25, exec_lo, -1
; %bb.388:                              ;   in Loop: Header=BB0_110 Depth=3
	s_or_b32 exec_lo, exec_lo, s27
	s_and_b32 s25, s25, exec_lo
	s_or_saveexec_b32 s26, s26
	v_mov_b32_e32 v21, 0x7f800001
	s_xor_b32 exec_lo, exec_lo, s26
	s_cbranch_execnz .LBB0_471
.LBB0_389:                              ;   in Loop: Header=BB0_110 Depth=3
	s_or_b32 exec_lo, exec_lo, s26
	s_and_saveexec_b32 s26, s25
	s_cbranch_execz .LBB0_391
.LBB0_390:                              ;   in Loop: Header=BB0_110 Depth=3
	v_bfe_u32 v21, v83, 24, 2
	v_bfe_u32 v75, v83, 26, 5
	v_ffbh_u32_e32 v73, v21
	v_cmp_eq_u32_e32 vcc_lo, 0, v75
	v_min_u32_e32 v73, 32, v73
	v_subrev_nc_u32_e32 v74, 29, v73
	v_sub_nc_u32_e32 v73, 30, v73
	v_lshlrev_b32_sdwa v74, v74, v83 dst_sel:DWORD dst_unused:UNUSED_PAD src0_sel:DWORD src1_sel:BYTE_3
	v_cndmask_b32_e32 v73, v75, v73, vcc_lo
	v_and_b32_e32 v83, 0x80000000, v83
	v_and_b32_e32 v74, 3, v74
	v_lshl_add_u32 v73, v73, 23, 0x37800000
	v_cndmask_b32_e32 v21, v21, v74, vcc_lo
	v_lshlrev_b32_e32 v21, 21, v21
	v_or3_b32 v21, v83, v73, v21
.LBB0_391:                              ;   in Loop: Header=BB0_110 Depth=3
	s_or_b32 exec_lo, exec_lo, s26
	v_max_f32_e32 v21, v21, v21
	v_max_f32_e32 v22, v22, v22
                                        ; implicit-def: $vgpr83
	v_max_f32_e32 v73, v22, v21
                                        ; implicit-def: $vgpr21_vgpr22
	s_andn2_saveexec_b32 s12, s12
	s_cbranch_execz .LBB0_406
	s_branch .LBB0_393
.LBB0_392:                              ;   in Loop: Header=BB0_110 Depth=3
	s_andn2_saveexec_b32 s12, s12
	s_cbranch_execz .LBB0_406
.LBB0_393:                              ;   in Loop: Header=BB0_110 Depth=3
	v_cmp_gt_i16_sdwa s26, v21, v119 src0_sel:BYTE_3 src1_sel:DWORD
	s_mov_b32 s25, 0
	s_and_saveexec_b32 s27, s26
	s_xor_b32 s26, exec_lo, s27
	s_cbranch_execz .LBB0_472
; %bb.394:                              ;   in Loop: Header=BB0_110 Depth=3
	v_cmp_eq_u16_sdwa s28, v21, v40 src0_sel:BYTE_3 src1_sel:DWORD
	s_mov_b32 s25, -1
	s_and_saveexec_b32 s27, s28
; %bb.395:                              ;   in Loop: Header=BB0_110 Depth=3
	s_xor_b32 s25, exec_lo, -1
; %bb.396:                              ;   in Loop: Header=BB0_110 Depth=3
	s_or_b32 exec_lo, exec_lo, s27
	s_and_b32 s25, s25, exec_lo
	s_or_saveexec_b32 s26, s26
	v_mov_b32_e32 v22, 0x7f800001
	s_xor_b32 exec_lo, exec_lo, s26
	s_cbranch_execnz .LBB0_473
.LBB0_397:                              ;   in Loop: Header=BB0_110 Depth=3
	s_or_b32 exec_lo, exec_lo, s26
	s_and_saveexec_b32 s26, s25
	s_cbranch_execz .LBB0_399
.LBB0_398:                              ;   in Loop: Header=BB0_110 Depth=3
	v_bfe_u32 v22, v21, 24, 2
	v_bfe_u32 v75, v21, 26, 5
	v_ffbh_u32_e32 v73, v22
	v_cmp_eq_u32_e32 vcc_lo, 0, v75
	v_min_u32_e32 v73, 32, v73
	v_subrev_nc_u32_e32 v74, 29, v73
	v_sub_nc_u32_e32 v73, 30, v73
	v_lshlrev_b32_sdwa v74, v74, v21 dst_sel:DWORD dst_unused:UNUSED_PAD src0_sel:DWORD src1_sel:BYTE_3
	v_cndmask_b32_e32 v73, v75, v73, vcc_lo
	v_and_b32_e32 v21, 0x80000000, v21
	v_and_b32_e32 v74, 3, v74
	v_lshl_add_u32 v73, v73, 23, 0x37800000
	v_cndmask_b32_e32 v22, v22, v74, vcc_lo
	v_lshlrev_b32_e32 v22, 21, v22
	v_or3_b32 v22, v21, v73, v22
.LBB0_399:                              ;   in Loop: Header=BB0_110 Depth=3
	s_or_b32 exec_lo, exec_lo, s26
	v_cmp_gt_i16_sdwa s26, v83, v119 src0_sel:BYTE_3 src1_sel:DWORD
	s_mov_b32 s25, 0
	s_and_saveexec_b32 s27, s26
	s_xor_b32 s26, exec_lo, s27
	s_cbranch_execz .LBB0_474
; %bb.400:                              ;   in Loop: Header=BB0_110 Depth=3
	v_cmp_eq_u16_sdwa s28, v83, v40 src0_sel:BYTE_3 src1_sel:DWORD
	s_mov_b32 s25, -1
	s_and_saveexec_b32 s27, s28
; %bb.401:                              ;   in Loop: Header=BB0_110 Depth=3
	s_xor_b32 s25, exec_lo, -1
; %bb.402:                              ;   in Loop: Header=BB0_110 Depth=3
	s_or_b32 exec_lo, exec_lo, s27
	s_and_b32 s25, s25, exec_lo
	s_or_saveexec_b32 s26, s26
	v_mov_b32_e32 v21, 0x7f800001
	s_xor_b32 exec_lo, exec_lo, s26
	s_cbranch_execnz .LBB0_475
.LBB0_403:                              ;   in Loop: Header=BB0_110 Depth=3
	s_or_b32 exec_lo, exec_lo, s26
	s_and_saveexec_b32 s26, s25
	s_cbranch_execz .LBB0_405
.LBB0_404:                              ;   in Loop: Header=BB0_110 Depth=3
	v_bfe_u32 v21, v83, 24, 2
	v_bfe_u32 v75, v83, 26, 5
	v_ffbh_u32_e32 v73, v21
	v_cmp_eq_u32_e32 vcc_lo, 0, v75
	v_min_u32_e32 v73, 32, v73
	v_subrev_nc_u32_e32 v74, 29, v73
	v_sub_nc_u32_e32 v73, 30, v73
	v_lshlrev_b32_sdwa v74, v74, v83 dst_sel:DWORD dst_unused:UNUSED_PAD src0_sel:DWORD src1_sel:BYTE_3
	v_cndmask_b32_e32 v73, v75, v73, vcc_lo
	v_and_b32_e32 v83, 0x80000000, v83
	v_and_b32_e32 v74, 3, v74
	v_lshl_add_u32 v73, v73, 23, 0x37800000
	v_cndmask_b32_e32 v21, v21, v74, vcc_lo
	v_lshlrev_b32_e32 v21, 21, v21
	v_or3_b32 v21, v83, v73, v21
.LBB0_405:                              ;   in Loop: Header=BB0_110 Depth=3
	s_or_b32 exec_lo, exec_lo, s26
	v_max_f32_e32 v21, v21, v21
	v_max_f32_e32 v22, v22, v22
	v_min_f32_e32 v73, v22, v21
.LBB0_406:                              ;   in Loop: Header=BB0_110 Depth=3
	s_or_b32 exec_lo, exec_lo, s12
	v_and_b32_e32 v21, 0x7f800000, v73
	v_cmp_ne_u32_e32 vcc_lo, 0x7f800000, v21
	v_mov_b32_e32 v21, 0x8000
	s_and_saveexec_b32 s25, vcc_lo
	s_cbranch_execz .LBB0_109
; %bb.407:                              ;   in Loop: Header=BB0_110 Depth=3
	v_mov_b32_e32 v21, 0
	s_mov_b32 s26, exec_lo
	v_cmpx_ne_u32_e32 0, v73
	s_cbranch_execz .LBB0_108
; %bb.408:                              ;   in Loop: Header=BB0_110 Depth=3
	v_bfe_u32 v21, v73, 23, 8
	v_and_b32_e32 v22, 0x7fffff, v73
	v_sub_nc_u32_e32 v83, 0x70, v21
	v_cmp_gt_u32_e32 vcc_lo, 0x71, v21
	v_or_b32_e32 v74, 0x800000, v22
	v_cndmask_b32_e32 v83, 0, v83, vcc_lo
	v_cmp_eq_u32_e32 vcc_lo, 0, v21
	v_add_nc_u32_e32 v21, 0xffffff91, v21
	v_cndmask_b32_e64 v83, v83, 0x6f, vcc_lo
	v_cndmask_b32_e32 v22, v74, v22, vcc_lo
	v_cndmask_b32_e64 v21, v21, 0xffffff92, vcc_lo
	v_lshl_add_u32 v74, 0x200000, v83, -1
	v_lshrrev_b32_e32 v75, v83, v22
	v_lshlrev_b32_e64 v77, v83, 0x100000
	v_add_nc_u32_e32 v83, v83, v21
	v_and_b32_e32 v22, v74, v22
	v_bfe_u32 v76, v75, 21, 1
	v_cmp_eq_u32_e64 s12, v22, v77
	v_add_nc_u32_e32 v74, -1, v76
	v_cndmask_b32_e64 v22, 0, v74, s12
	v_lshrrev_b32_e32 v74, 23, v75
	s_mov_b32 s12, exec_lo
	v_add_nc_u32_e32 v22, v22, v75
	v_xor_b32_e32 v74, 1, v74
	v_and_b32_e32 v21, 0x1fffff, v22
	v_add_nc_u32_e32 v22, v21, v75
                                        ; implicit-def: $vgpr21
	v_cmpx_ne_u32_e64 v83, v74
	s_xor_b32 s12, exec_lo, s12
; %bb.409:                              ;   in Loop: Header=BB0_110 Depth=3
	v_cmp_lt_u32_e32 vcc_lo, 0xffffff, v22
	v_sub_nc_u32_e32 v21, v83, v74
	v_cndmask_b32_e64 v83, 0, 1, vcc_lo
	v_add_co_ci_u32_e64 v21, null, 0, v21, vcc_lo
	v_lshrrev_b32_e32 v22, v83, v22
; %bb.410:                              ;   in Loop: Header=BB0_110 Depth=3
	s_andn2_saveexec_b32 s12, s12
	s_cbranch_execz .LBB0_107
; %bb.411:                              ;   in Loop: Header=BB0_110 Depth=3
	v_bfe_u32 v21, v22, 23, 1
	s_branch .LBB0_107
.LBB0_412:                              ;   in Loop: Header=BB0_110 Depth=3
	s_or_saveexec_b32 s26, s26
	v_mov_b32_e32 v17, 0x7f800001
	s_xor_b32 exec_lo, exec_lo, s26
	s_cbranch_execz .LBB0_131
.LBB0_413:                              ;   in Loop: Header=BB0_110 Depth=3
	v_cmp_ne_u16_sdwa s27, v19, v53 src0_sel:BYTE_0 src1_sel:DWORD
	v_mov_b32_e32 v17, 0
	s_andn2_b32 s25, s25, exec_lo
	s_and_b32 s27, s27, exec_lo
	s_or_b32 s25, s25, s27
	s_or_b32 exec_lo, exec_lo, s26
	s_and_saveexec_b32 s26, s25
	s_cbranch_execnz .LBB0_132
	s_branch .LBB0_133
.LBB0_414:                              ;   in Loop: Header=BB0_110 Depth=3
	s_or_saveexec_b32 s26, s26
	v_mov_b32_e32 v20, 0x7f800001
	s_xor_b32 exec_lo, exec_lo, s26
	s_cbranch_execz .LBB0_137
.LBB0_415:                              ;   in Loop: Header=BB0_110 Depth=3
	v_cmp_ne_u16_sdwa s27, v83, v53 src0_sel:BYTE_0 src1_sel:DWORD
	v_mov_b32_e32 v20, 0
	s_andn2_b32 s25, s25, exec_lo
	s_and_b32 s27, s27, exec_lo
	s_or_b32 s25, s25, s27
	s_or_b32 exec_lo, exec_lo, s26
	s_and_saveexec_b32 s26, s25
	s_cbranch_execnz .LBB0_138
	s_branch .LBB0_139
.LBB0_416:                              ;   in Loop: Header=BB0_110 Depth=3
	s_or_saveexec_b32 s26, s26
	v_mov_b32_e32 v17, 0x7f800001
	s_xor_b32 exec_lo, exec_lo, s26
	s_cbranch_execz .LBB0_145
.LBB0_417:                              ;   in Loop: Header=BB0_110 Depth=3
	v_cmp_ne_u16_sdwa s27, v19, v53 src0_sel:BYTE_0 src1_sel:DWORD
	v_mov_b32_e32 v17, 0
	s_andn2_b32 s25, s25, exec_lo
	s_and_b32 s27, s27, exec_lo
	s_or_b32 s25, s25, s27
	s_or_b32 exec_lo, exec_lo, s26
	s_and_saveexec_b32 s26, s25
	s_cbranch_execnz .LBB0_146
	s_branch .LBB0_147
.LBB0_418:                              ;   in Loop: Header=BB0_110 Depth=3
	s_or_saveexec_b32 s26, s26
	v_mov_b32_e32 v20, 0x7f800001
	s_xor_b32 exec_lo, exec_lo, s26
	s_cbranch_execz .LBB0_151
.LBB0_419:                              ;   in Loop: Header=BB0_110 Depth=3
	v_cmp_ne_u16_sdwa s27, v83, v53 src0_sel:BYTE_0 src1_sel:DWORD
	v_mov_b32_e32 v20, 0
	s_andn2_b32 s25, s25, exec_lo
	s_and_b32 s27, s27, exec_lo
	s_or_b32 s25, s25, s27
	s_or_b32 exec_lo, exec_lo, s26
	s_and_saveexec_b32 s26, s25
	s_cbranch_execnz .LBB0_152
	s_branch .LBB0_153
.LBB0_420:                              ;   in Loop: Header=BB0_110 Depth=3
	s_or_saveexec_b32 s26, s26
	v_mov_b32_e32 v20, 0x7f800001
	s_xor_b32 exec_lo, exec_lo, s26
	s_cbranch_execz .LBB0_167
.LBB0_421:                              ;   in Loop: Header=BB0_110 Depth=3
	v_cmp_ne_u16_sdwa s27, v19, v53 src0_sel:BYTE_1 src1_sel:DWORD
	v_mov_b32_e32 v20, 0
	s_andn2_b32 s25, s25, exec_lo
	s_and_b32 s27, s27, exec_lo
	s_or_b32 s25, s25, s27
	s_or_b32 exec_lo, exec_lo, s26
	s_and_saveexec_b32 s26, s25
	s_cbranch_execnz .LBB0_168
	s_branch .LBB0_169
.LBB0_422:                              ;   in Loop: Header=BB0_110 Depth=3
	s_or_saveexec_b32 s26, s26
	v_mov_b32_e32 v52, 0x7f800001
	s_xor_b32 exec_lo, exec_lo, s26
	s_cbranch_execz .LBB0_173
.LBB0_423:                              ;   in Loop: Header=BB0_110 Depth=3
	v_cmp_ne_u16_sdwa s27, v83, v53 src0_sel:BYTE_1 src1_sel:DWORD
	v_mov_b32_e32 v52, 0
	s_andn2_b32 s25, s25, exec_lo
	s_and_b32 s27, s27, exec_lo
	s_or_b32 s25, s25, s27
	s_or_b32 exec_lo, exec_lo, s26
	s_and_saveexec_b32 s26, s25
	s_cbranch_execnz .LBB0_174
	s_branch .LBB0_175
.LBB0_424:                              ;   in Loop: Header=BB0_110 Depth=3
	s_or_saveexec_b32 s26, s26
	v_mov_b32_e32 v20, 0x7f800001
	s_xor_b32 exec_lo, exec_lo, s26
	s_cbranch_execz .LBB0_181
.LBB0_425:                              ;   in Loop: Header=BB0_110 Depth=3
	v_cmp_ne_u16_sdwa s27, v19, v53 src0_sel:BYTE_1 src1_sel:DWORD
	v_mov_b32_e32 v20, 0
	s_andn2_b32 s25, s25, exec_lo
	s_and_b32 s27, s27, exec_lo
	s_or_b32 s25, s25, s27
	s_or_b32 exec_lo, exec_lo, s26
	s_and_saveexec_b32 s26, s25
	s_cbranch_execnz .LBB0_182
	s_branch .LBB0_183
.LBB0_426:                              ;   in Loop: Header=BB0_110 Depth=3
	s_or_saveexec_b32 s26, s26
	v_mov_b32_e32 v52, 0x7f800001
	s_xor_b32 exec_lo, exec_lo, s26
	s_cbranch_execz .LBB0_187
.LBB0_427:                              ;   in Loop: Header=BB0_110 Depth=3
	v_cmp_ne_u16_sdwa s27, v83, v53 src0_sel:BYTE_1 src1_sel:DWORD
	v_mov_b32_e32 v52, 0
	s_andn2_b32 s25, s25, exec_lo
	s_and_b32 s27, s27, exec_lo
	s_or_b32 s25, s25, s27
	s_or_b32 exec_lo, exec_lo, s26
	s_and_saveexec_b32 s26, s25
	s_cbranch_execnz .LBB0_188
	s_branch .LBB0_189
.LBB0_428:                              ;   in Loop: Header=BB0_110 Depth=3
	s_or_saveexec_b32 s26, s26
	v_mov_b32_e32 v52, 0x7f800001
	s_xor_b32 exec_lo, exec_lo, s26
	s_cbranch_execz .LBB0_203
.LBB0_429:                              ;   in Loop: Header=BB0_110 Depth=3
	v_cmp_ne_u16_e32 vcc_lo, 0, v96
	v_mov_b32_e32 v52, 0
	s_andn2_b32 s25, s25, exec_lo
	s_and_b32 s27, vcc_lo, exec_lo
	s_or_b32 s25, s25, s27
	s_or_b32 exec_lo, exec_lo, s26
	s_and_saveexec_b32 s26, s25
	s_cbranch_execnz .LBB0_204
	s_branch .LBB0_205
.LBB0_430:                              ;   in Loop: Header=BB0_110 Depth=3
	s_or_saveexec_b32 s26, s26
	v_mov_b32_e32 v96, 0x7f800001
	s_xor_b32 exec_lo, exec_lo, s26
	s_cbranch_execz .LBB0_209
.LBB0_431:                              ;   in Loop: Header=BB0_110 Depth=3
	v_cmp_ne_u16_e32 vcc_lo, 0, v97
	v_mov_b32_e32 v96, 0
	s_andn2_b32 s25, s25, exec_lo
	s_and_b32 s27, vcc_lo, exec_lo
	s_or_b32 s25, s25, s27
	s_or_b32 exec_lo, exec_lo, s26
	s_and_saveexec_b32 s26, s25
	s_cbranch_execnz .LBB0_210
	s_branch .LBB0_211
.LBB0_432:                              ;   in Loop: Header=BB0_110 Depth=3
	s_or_saveexec_b32 s26, s26
	v_mov_b32_e32 v52, 0x7f800001
	s_xor_b32 exec_lo, exec_lo, s26
	s_cbranch_execz .LBB0_217
.LBB0_433:                              ;   in Loop: Header=BB0_110 Depth=3
	v_cmp_ne_u16_e32 vcc_lo, 0, v96
	v_mov_b32_e32 v52, 0
	s_andn2_b32 s25, s25, exec_lo
	s_and_b32 s27, vcc_lo, exec_lo
	s_or_b32 s25, s25, s27
	s_or_b32 exec_lo, exec_lo, s26
	s_and_saveexec_b32 s26, s25
	s_cbranch_execnz .LBB0_218
	s_branch .LBB0_219
.LBB0_434:                              ;   in Loop: Header=BB0_110 Depth=3
	s_or_saveexec_b32 s26, s26
	v_mov_b32_e32 v96, 0x7f800001
	s_xor_b32 exec_lo, exec_lo, s26
	s_cbranch_execz .LBB0_223
.LBB0_435:                              ;   in Loop: Header=BB0_110 Depth=3
	v_cmp_ne_u16_e32 vcc_lo, 0, v97
	v_mov_b32_e32 v96, 0
	s_andn2_b32 s25, s25, exec_lo
	s_and_b32 s27, vcc_lo, exec_lo
	s_or_b32 s25, s25, s27
	s_or_b32 exec_lo, exec_lo, s26
	s_and_saveexec_b32 s26, s25
	s_cbranch_execnz .LBB0_224
	s_branch .LBB0_225
.LBB0_436:                              ;   in Loop: Header=BB0_110 Depth=3
	s_or_saveexec_b32 s26, s26
	v_mov_b32_e32 v96, 0x7f800001
	s_xor_b32 exec_lo, exec_lo, s26
	s_cbranch_execz .LBB0_239
.LBB0_437:                              ;   in Loop: Header=BB0_110 Depth=3
	v_cmp_ne_u16_sdwa s27, v19, v53 src0_sel:BYTE_3 src1_sel:DWORD
	v_mov_b32_e32 v96, 0
	s_andn2_b32 s25, s25, exec_lo
	s_and_b32 s27, s27, exec_lo
	s_or_b32 s25, s25, s27
	s_or_b32 exec_lo, exec_lo, s26
	s_and_saveexec_b32 s26, s25
	s_cbranch_execnz .LBB0_240
	s_branch .LBB0_241
.LBB0_438:                              ;   in Loop: Header=BB0_110 Depth=3
	s_or_saveexec_b32 s26, s26
	v_mov_b32_e32 v19, 0x7f800001
	s_xor_b32 exec_lo, exec_lo, s26
	s_cbranch_execz .LBB0_245
.LBB0_439:                              ;   in Loop: Header=BB0_110 Depth=3
	v_cmp_ne_u16_sdwa s27, v83, v53 src0_sel:BYTE_3 src1_sel:DWORD
	v_mov_b32_e32 v19, 0
	s_andn2_b32 s25, s25, exec_lo
	s_and_b32 s27, s27, exec_lo
	s_or_b32 s25, s25, s27
	s_or_b32 exec_lo, exec_lo, s26
	s_and_saveexec_b32 s26, s25
	s_cbranch_execnz .LBB0_246
	s_branch .LBB0_247
.LBB0_440:                              ;   in Loop: Header=BB0_110 Depth=3
	s_or_saveexec_b32 s26, s26
	v_mov_b32_e32 v96, 0x7f800001
	s_xor_b32 exec_lo, exec_lo, s26
	s_cbranch_execz .LBB0_253
.LBB0_441:                              ;   in Loop: Header=BB0_110 Depth=3
	v_cmp_ne_u16_sdwa s27, v19, v53 src0_sel:BYTE_3 src1_sel:DWORD
	v_mov_b32_e32 v96, 0
	s_andn2_b32 s25, s25, exec_lo
	s_and_b32 s27, s27, exec_lo
	s_or_b32 s25, s25, s27
	s_or_b32 exec_lo, exec_lo, s26
	s_and_saveexec_b32 s26, s25
	s_cbranch_execnz .LBB0_254
	s_branch .LBB0_255
.LBB0_442:                              ;   in Loop: Header=BB0_110 Depth=3
	s_or_saveexec_b32 s26, s26
	v_mov_b32_e32 v19, 0x7f800001
	s_xor_b32 exec_lo, exec_lo, s26
	s_cbranch_execz .LBB0_259
.LBB0_443:                              ;   in Loop: Header=BB0_110 Depth=3
	v_cmp_ne_u16_sdwa s27, v83, v53 src0_sel:BYTE_3 src1_sel:DWORD
	v_mov_b32_e32 v19, 0
	s_andn2_b32 s25, s25, exec_lo
	s_and_b32 s27, s27, exec_lo
	s_or_b32 s25, s25, s27
	s_or_b32 exec_lo, exec_lo, s26
	s_and_saveexec_b32 s26, s25
	s_cbranch_execnz .LBB0_260
	s_branch .LBB0_261
.LBB0_444:                              ;   in Loop: Header=BB0_110 Depth=3
	s_or_saveexec_b32 s26, s26
	v_mov_b32_e32 v22, 0x7f800001
	s_xor_b32 exec_lo, exec_lo, s26
	s_cbranch_execz .LBB0_275
.LBB0_445:                              ;   in Loop: Header=BB0_110 Depth=3
	v_cmp_ne_u16_sdwa s27, v21, v53 src0_sel:BYTE_0 src1_sel:DWORD
	v_mov_b32_e32 v22, 0
	s_andn2_b32 s25, s25, exec_lo
	s_and_b32 s27, s27, exec_lo
	s_or_b32 s25, s25, s27
	s_or_b32 exec_lo, exec_lo, s26
	s_and_saveexec_b32 s26, s25
	s_cbranch_execnz .LBB0_276
	s_branch .LBB0_277
.LBB0_446:                              ;   in Loop: Header=BB0_110 Depth=3
	s_or_saveexec_b32 s26, s26
	v_mov_b32_e32 v96, 0x7f800001
	s_xor_b32 exec_lo, exec_lo, s26
	s_cbranch_execz .LBB0_281
.LBB0_447:                              ;   in Loop: Header=BB0_110 Depth=3
	v_cmp_ne_u16_sdwa s27, v83, v53 src0_sel:BYTE_0 src1_sel:DWORD
	v_mov_b32_e32 v96, 0
	s_andn2_b32 s25, s25, exec_lo
	s_and_b32 s27, s27, exec_lo
	s_or_b32 s25, s25, s27
	s_or_b32 exec_lo, exec_lo, s26
	s_and_saveexec_b32 s26, s25
	s_cbranch_execnz .LBB0_282
	s_branch .LBB0_283
.LBB0_448:                              ;   in Loop: Header=BB0_110 Depth=3
	s_or_saveexec_b32 s26, s26
	v_mov_b32_e32 v22, 0x7f800001
	s_xor_b32 exec_lo, exec_lo, s26
	s_cbranch_execz .LBB0_289
.LBB0_449:                              ;   in Loop: Header=BB0_110 Depth=3
	v_cmp_ne_u16_sdwa s27, v21, v53 src0_sel:BYTE_0 src1_sel:DWORD
	v_mov_b32_e32 v22, 0
	s_andn2_b32 s25, s25, exec_lo
	s_and_b32 s27, s27, exec_lo
	s_or_b32 s25, s25, s27
	s_or_b32 exec_lo, exec_lo, s26
	s_and_saveexec_b32 s26, s25
	s_cbranch_execnz .LBB0_290
	s_branch .LBB0_291
.LBB0_450:                              ;   in Loop: Header=BB0_110 Depth=3
	s_or_saveexec_b32 s26, s26
	v_mov_b32_e32 v96, 0x7f800001
	s_xor_b32 exec_lo, exec_lo, s26
	s_cbranch_execz .LBB0_295
.LBB0_451:                              ;   in Loop: Header=BB0_110 Depth=3
	v_cmp_ne_u16_sdwa s27, v83, v53 src0_sel:BYTE_0 src1_sel:DWORD
	v_mov_b32_e32 v96, 0
	s_andn2_b32 s25, s25, exec_lo
	s_and_b32 s27, s27, exec_lo
	s_or_b32 s25, s25, s27
	s_or_b32 exec_lo, exec_lo, s26
	s_and_saveexec_b32 s26, s25
	s_cbranch_execnz .LBB0_296
	s_branch .LBB0_297
.LBB0_452:                              ;   in Loop: Header=BB0_110 Depth=3
	s_or_saveexec_b32 s26, s26
	v_mov_b32_e32 v22, 0x7f800001
	s_xor_b32 exec_lo, exec_lo, s26
	s_cbranch_execz .LBB0_311
.LBB0_453:                              ;   in Loop: Header=BB0_110 Depth=3
	v_cmp_ne_u16_sdwa s27, v21, v53 src0_sel:BYTE_1 src1_sel:DWORD
	v_mov_b32_e32 v22, 0
	s_andn2_b32 s25, s25, exec_lo
	s_and_b32 s27, s27, exec_lo
	s_or_b32 s25, s25, s27
	s_or_b32 exec_lo, exec_lo, s26
	s_and_saveexec_b32 s26, s25
	s_cbranch_execnz .LBB0_312
	s_branch .LBB0_313
.LBB0_454:                              ;   in Loop: Header=BB0_110 Depth=3
	s_or_saveexec_b32 s26, s26
	v_mov_b32_e32 v97, 0x7f800001
	s_xor_b32 exec_lo, exec_lo, s26
	s_cbranch_execz .LBB0_317
.LBB0_455:                              ;   in Loop: Header=BB0_110 Depth=3
	v_cmp_ne_u16_sdwa s27, v83, v53 src0_sel:BYTE_1 src1_sel:DWORD
	v_mov_b32_e32 v97, 0
	s_andn2_b32 s25, s25, exec_lo
	s_and_b32 s27, s27, exec_lo
	s_or_b32 s25, s25, s27
	s_or_b32 exec_lo, exec_lo, s26
	s_and_saveexec_b32 s26, s25
	s_cbranch_execnz .LBB0_318
	s_branch .LBB0_319
.LBB0_456:                              ;   in Loop: Header=BB0_110 Depth=3
	s_or_saveexec_b32 s26, s26
	v_mov_b32_e32 v22, 0x7f800001
	s_xor_b32 exec_lo, exec_lo, s26
	s_cbranch_execz .LBB0_325
.LBB0_457:                              ;   in Loop: Header=BB0_110 Depth=3
	v_cmp_ne_u16_sdwa s27, v21, v53 src0_sel:BYTE_1 src1_sel:DWORD
	v_mov_b32_e32 v22, 0
	s_andn2_b32 s25, s25, exec_lo
	s_and_b32 s27, s27, exec_lo
	s_or_b32 s25, s25, s27
	s_or_b32 exec_lo, exec_lo, s26
	s_and_saveexec_b32 s26, s25
	s_cbranch_execnz .LBB0_326
	s_branch .LBB0_327
.LBB0_458:                              ;   in Loop: Header=BB0_110 Depth=3
	s_or_saveexec_b32 s26, s26
	v_mov_b32_e32 v97, 0x7f800001
	s_xor_b32 exec_lo, exec_lo, s26
	s_cbranch_execz .LBB0_331
.LBB0_459:                              ;   in Loop: Header=BB0_110 Depth=3
	v_cmp_ne_u16_sdwa s27, v83, v53 src0_sel:BYTE_1 src1_sel:DWORD
	v_mov_b32_e32 v97, 0
	s_andn2_b32 s25, s25, exec_lo
	s_and_b32 s27, s27, exec_lo
	s_or_b32 s25, s25, s27
	s_or_b32 exec_lo, exec_lo, s26
	s_and_saveexec_b32 s26, s25
	s_cbranch_execnz .LBB0_332
	s_branch .LBB0_333
.LBB0_460:                              ;   in Loop: Header=BB0_110 Depth=3
	s_or_saveexec_b32 s26, s26
	v_mov_b32_e32 v22, 0x7f800001
	s_xor_b32 exec_lo, exec_lo, s26
	s_cbranch_execz .LBB0_347
.LBB0_461:                              ;   in Loop: Header=BB0_110 Depth=3
	v_cmp_ne_u16_e32 vcc_lo, 0, v72
	v_mov_b32_e32 v22, 0
	s_andn2_b32 s25, s25, exec_lo
	s_and_b32 s27, vcc_lo, exec_lo
	s_or_b32 s25, s25, s27
	s_or_b32 exec_lo, exec_lo, s26
	s_and_saveexec_b32 s26, s25
	s_cbranch_execnz .LBB0_348
	s_branch .LBB0_349
.LBB0_462:                              ;   in Loop: Header=BB0_110 Depth=3
	s_or_saveexec_b32 s26, s26
	v_mov_b32_e32 v72, 0x7f800001
	s_xor_b32 exec_lo, exec_lo, s26
	s_cbranch_execz .LBB0_353
.LBB0_463:                              ;   in Loop: Header=BB0_110 Depth=3
	v_cmp_ne_u16_e32 vcc_lo, 0, v73
	v_mov_b32_e32 v72, 0
	s_andn2_b32 s25, s25, exec_lo
	s_and_b32 s27, vcc_lo, exec_lo
	s_or_b32 s25, s25, s27
	s_or_b32 exec_lo, exec_lo, s26
	s_and_saveexec_b32 s26, s25
	s_cbranch_execnz .LBB0_354
	s_branch .LBB0_355
.LBB0_464:                              ;   in Loop: Header=BB0_110 Depth=3
	s_or_saveexec_b32 s26, s26
	v_mov_b32_e32 v22, 0x7f800001
	s_xor_b32 exec_lo, exec_lo, s26
	s_cbranch_execz .LBB0_361
.LBB0_465:                              ;   in Loop: Header=BB0_110 Depth=3
	v_cmp_ne_u16_e32 vcc_lo, 0, v72
	v_mov_b32_e32 v22, 0
	s_andn2_b32 s25, s25, exec_lo
	s_and_b32 s27, vcc_lo, exec_lo
	s_or_b32 s25, s25, s27
	s_or_b32 exec_lo, exec_lo, s26
	s_and_saveexec_b32 s26, s25
	s_cbranch_execnz .LBB0_362
	s_branch .LBB0_363
.LBB0_466:                              ;   in Loop: Header=BB0_110 Depth=3
	s_or_saveexec_b32 s26, s26
	v_mov_b32_e32 v72, 0x7f800001
	s_xor_b32 exec_lo, exec_lo, s26
	s_cbranch_execz .LBB0_367
.LBB0_467:                              ;   in Loop: Header=BB0_110 Depth=3
	v_cmp_ne_u16_e32 vcc_lo, 0, v73
	v_mov_b32_e32 v72, 0
	s_andn2_b32 s25, s25, exec_lo
	s_and_b32 s27, vcc_lo, exec_lo
	s_or_b32 s25, s25, s27
	s_or_b32 exec_lo, exec_lo, s26
	s_and_saveexec_b32 s26, s25
	s_cbranch_execnz .LBB0_368
	s_branch .LBB0_369
.LBB0_468:                              ;   in Loop: Header=BB0_110 Depth=3
	s_or_saveexec_b32 s26, s26
	v_mov_b32_e32 v22, 0x7f800001
	s_xor_b32 exec_lo, exec_lo, s26
	s_cbranch_execz .LBB0_383
.LBB0_469:                              ;   in Loop: Header=BB0_110 Depth=3
	v_cmp_ne_u16_sdwa s27, v21, v53 src0_sel:BYTE_3 src1_sel:DWORD
	v_mov_b32_e32 v22, 0
	s_andn2_b32 s25, s25, exec_lo
	s_and_b32 s27, s27, exec_lo
	s_or_b32 s25, s25, s27
	s_or_b32 exec_lo, exec_lo, s26
	s_and_saveexec_b32 s26, s25
	s_cbranch_execnz .LBB0_384
	s_branch .LBB0_385
.LBB0_470:                              ;   in Loop: Header=BB0_110 Depth=3
	s_or_saveexec_b32 s26, s26
	v_mov_b32_e32 v21, 0x7f800001
	s_xor_b32 exec_lo, exec_lo, s26
	s_cbranch_execz .LBB0_389
.LBB0_471:                              ;   in Loop: Header=BB0_110 Depth=3
	v_cmp_ne_u16_sdwa s27, v83, v53 src0_sel:BYTE_3 src1_sel:DWORD
	v_mov_b32_e32 v21, 0
	s_andn2_b32 s25, s25, exec_lo
	s_and_b32 s27, s27, exec_lo
	s_or_b32 s25, s25, s27
	s_or_b32 exec_lo, exec_lo, s26
	s_and_saveexec_b32 s26, s25
	s_cbranch_execnz .LBB0_390
	s_branch .LBB0_391
.LBB0_472:                              ;   in Loop: Header=BB0_110 Depth=3
	s_or_saveexec_b32 s26, s26
	v_mov_b32_e32 v22, 0x7f800001
	s_xor_b32 exec_lo, exec_lo, s26
	s_cbranch_execz .LBB0_397
.LBB0_473:                              ;   in Loop: Header=BB0_110 Depth=3
	v_cmp_ne_u16_sdwa s27, v21, v53 src0_sel:BYTE_3 src1_sel:DWORD
	v_mov_b32_e32 v22, 0
	s_andn2_b32 s25, s25, exec_lo
	s_and_b32 s27, s27, exec_lo
	s_or_b32 s25, s25, s27
	s_or_b32 exec_lo, exec_lo, s26
	s_and_saveexec_b32 s26, s25
	s_cbranch_execnz .LBB0_398
	s_branch .LBB0_399
.LBB0_474:                              ;   in Loop: Header=BB0_110 Depth=3
	s_or_saveexec_b32 s26, s26
	v_mov_b32_e32 v21, 0x7f800001
	s_xor_b32 exec_lo, exec_lo, s26
	s_cbranch_execz .LBB0_403
.LBB0_475:                              ;   in Loop: Header=BB0_110 Depth=3
	v_cmp_ne_u16_sdwa s27, v83, v53 src0_sel:BYTE_3 src1_sel:DWORD
	v_mov_b32_e32 v21, 0
	s_andn2_b32 s25, s25, exec_lo
	s_and_b32 s27, s27, exec_lo
	s_or_b32 s25, s25, s27
	s_or_b32 exec_lo, exec_lo, s26
	s_and_saveexec_b32 s26, s25
	s_cbranch_execnz .LBB0_404
	s_branch .LBB0_405
.LBB0_476:                              ;   in Loop: Header=BB0_70 Depth=2
	s_or_b32 exec_lo, exec_lo, s23
	s_and_saveexec_b32 s12, s7
	s_cbranch_execz .LBB0_489
.LBB0_477:                              ;   in Loop: Header=BB0_70 Depth=2
	s_and_saveexec_b32 s23, s19
	s_xor_b32 s23, exec_lo, s23
	s_cbranch_execz .LBB0_498
; %bb.478:                              ;   in Loop: Header=BB0_70 Depth=2
	s_and_saveexec_b32 s24, s8
	s_cbranch_execz .LBB0_497
; %bb.479:                              ;   in Loop: Header=BB0_70 Depth=2
	s_mov_b32 s26, exec_lo
	s_mov_b32 s25, exec_lo
	v_mbcnt_lo_u32_b32 v17, s26, 0
	s_waitcnt vmcnt(0) lgkmcnt(0)
	s_waitcnt_vscnt null, 0x0
	buffer_gl1_inv
	buffer_gl0_inv
	v_cmpx_eq_u32_e32 0, v17
	s_cbranch_execz .LBB0_481
; %bb.480:                              ;   in Loop: Header=BB0_70 Depth=2
	s_bcnt1_i32_b32 s26, s26
	v_mov_b32_e32 v52, s26
	ds_add_u64 v0, v[52:53]
	s_trap 2
.LBB0_481:                              ;   in Loop: Header=BB0_70 Depth=2
	s_or_b32 exec_lo, exec_lo, s25
	s_trap 2
	ds_read_b64 v[19:20], v0
	s_waitcnt lgkmcnt(0)
	buffer_gl0_inv
	v_add_co_u32 v2, vcc_lo, v2, v100
	v_add_co_ci_u32_e64 v3, null, 0, v3, vcc_lo
	s_mov_b32 s25, exec_lo
	v_cmpx_lt_u64_e64 v[19:20], v[2:3]
	s_cbranch_execz .LBB0_496
; %bb.482:                              ;   in Loop: Header=BB0_70 Depth=2
	s_mov_b32 s26, 0
	s_mov_b32 s29, 0
                                        ; implicit-def: $sgpr27
                                        ; implicit-def: $sgpr28
	s_inst_prefetch 0x1
	s_branch .LBB0_484
	.p2align	6
.LBB0_483:                              ;   in Loop: Header=BB0_484 Depth=3
	s_or_b32 exec_lo, exec_lo, s41
	s_and_b32 s40, exec_lo, s42
	s_or_b32 s26, s40, s26
	s_andn2_b32 s27, s27, exec_lo
	s_and_b32 s40, s28, exec_lo
	s_or_b32 s27, s27, s40
	s_andn2_b32 exec_lo, exec_lo, s26
	s_cbranch_execz .LBB0_494
.LBB0_484:                              ;   Parent Loop BB0_21 Depth=1
                                        ;     Parent Loop BB0_70 Depth=2
                                        ; =>    This Inner Loop Header: Depth=3
	s_add_i32 s29, s29, 1
	s_cmpk_lg_i32 s29, 0x2710
	s_cselect_b32 s40, -1, 0
	s_and_b32 vcc_lo, exec_lo, s40
	s_cbranch_vccz .LBB0_486
; %bb.485:                              ;   in Loop: Header=BB0_484 Depth=3
	s_mov_b32 s42, -1
	s_or_b32 s28, s28, exec_lo
	s_and_saveexec_b32 s41, s40
	s_cbranch_execz .LBB0_483
	s_branch .LBB0_487
	.p2align	6
.LBB0_486:                              ;   in Loop: Header=BB0_484 Depth=3
	s_trap 2
	ds_read_b64 v[19:20], v0
	s_andn2_b32 s40, s40, exec_lo
	s_mov_b32 s29, 0
	s_waitcnt lgkmcnt(0)
	flat_load_dword v17, v[19:20] glc dlc
	s_waitcnt vmcnt(0) lgkmcnt(0)
	buffer_gl1_inv
	buffer_gl0_inv
	v_cmp_eq_u32_e32 vcc_lo, 0, v17
	s_and_b32 s41, vcc_lo, exec_lo
	s_or_b32 s40, s40, s41
	s_mov_b32 s42, -1
	s_or_b32 s28, s28, exec_lo
	s_and_saveexec_b32 s41, s40
	s_cbranch_execz .LBB0_483
.LBB0_487:                              ;   in Loop: Header=BB0_484 Depth=3
	s_sleep 1
	s_trap 2
	ds_read_b64 v[19:20], v0
	s_waitcnt lgkmcnt(0)
	buffer_gl0_inv
	s_andn2_b32 s28, s28, exec_lo
	v_cmp_ge_u64_e32 vcc_lo, v[19:20], v[2:3]
	s_orn2_b32 s42, vcc_lo, exec_lo
	s_branch .LBB0_483
.LBB0_488:                              ;   in Loop: Header=BB0_70 Depth=2
	s_or_b32 exec_lo, exec_lo, s24
	s_or_b32 exec_lo, exec_lo, s23
	s_and_saveexec_b32 s12, s7
	s_cbranch_execnz .LBB0_477
.LBB0_489:                              ;   in Loop: Header=BB0_70 Depth=2
	s_or_b32 exec_lo, exec_lo, s12
	s_and_saveexec_b32 s12, s10
	s_cbranch_execz .LBB0_491
.LBB0_490:                              ;   in Loop: Header=BB0_70 Depth=2
	v_add_co_u32 v38, vcc_lo, v38, 1
	v_add_co_ci_u32_e64 v39, null, 0, v39, vcc_lo
	s_waitcnt vmcnt(0) lgkmcnt(0)
	s_waitcnt_vscnt null, 0x0
	flat_store_dwordx2 v[48:49], v[38:39]
.LBB0_491:                              ;   in Loop: Header=BB0_70 Depth=2
	s_or_b32 exec_lo, exec_lo, s12
	v_and_b32_e32 v52, 0x7ffffff8, v70
	v_cmp_gt_i32_e64 s12, s18, v82
	v_cmp_eq_u64_e32 vcc_lo, 0x7ffffff8, v[52:53]
	s_and_b32 s12, vcc_lo, s12
	s_and_saveexec_b32 s23, s12
	s_cbranch_execz .LBB0_69
; %bb.492:                              ;   in Loop: Header=BB0_70 Depth=2
	v_and_b32_e32 v17, 7, v57
	v_ashrrev_i32_e32 v83, 31, v82
	s_mov_b32 s24, 0
	s_waitcnt vmcnt(0) lgkmcnt(0)
	v_mul_lo_u32 v19, s18, v17
	v_lshlrev_b64 v[21:22], 4, v[82:83]
	v_mov_b32_e32 v17, v53
	v_ashrrev_i32_e32 v20, 31, v19
	v_lshlrev_b64 v[19:20], 4, v[19:20]
	v_add_co_u32 v19, vcc_lo, v21, v19
	v_add_co_ci_u32_e64 v20, null, v22, v20, vcc_lo
	v_add_co_u32 v21, vcc_lo, v36, v19
	v_add_co_ci_u32_e64 v22, null, v37, v20, vcc_lo
.LBB0_493:                              ;   Parent Loop BB0_21 Depth=1
                                        ;     Parent Loop BB0_70 Depth=2
                                        ; =>    This Inner Loop Header: Depth=3
	v_mov_b32_e32 v19, v17
	v_add_nc_u32_e32 v82, v82, v1
	v_mov_b32_e32 v20, v18
	v_cmp_le_i32_e32 vcc_lo, s18, v82
	global_store_dwordx4 v[21:22], v[17:20], off
	v_add_co_u32 v21, s12, v21, v9
	v_add_co_ci_u32_e64 v22, null, v22, v10, s12
	s_or_b32 s24, vcc_lo, s24
	s_andn2_b32 exec_lo, exec_lo, s24
	s_cbranch_execnz .LBB0_493
	s_branch .LBB0_69
.LBB0_494:                              ;   in Loop: Header=BB0_70 Depth=2
	s_inst_prefetch 0x2
	s_or_b32 exec_lo, exec_lo, s26
	s_and_saveexec_b32 s26, s27
	s_xor_b32 s26, exec_lo, s26
	s_cbranch_execz .LBB0_496
; %bb.495:                              ;   in Loop: Header=BB0_70 Depth=2
	ds_write_b32 v0, v118
	s_trap 2
.LBB0_496:                              ;   in Loop: Header=BB0_70 Depth=2
	s_or_b32 exec_lo, exec_lo, s25
	;;#ASMSTART
	s_wakeup
	;;#ASMEND
.LBB0_497:                              ;   in Loop: Header=BB0_70 Depth=2
	s_or_b32 exec_lo, exec_lo, s24
.LBB0_498:                              ;   in Loop: Header=BB0_70 Depth=2
	s_andn2_saveexec_b32 s23, s23
	s_cbranch_execz .LBB0_500
; %bb.499:                              ;   in Loop: Header=BB0_70 Depth=2
	s_waitcnt vmcnt(0) lgkmcnt(0)
	s_waitcnt_vscnt null, 0x0
	buffer_gl1_inv
	buffer_gl0_inv
	s_barrier
.LBB0_500:                              ;   in Loop: Header=BB0_70 Depth=2
	s_or_b32 exec_lo, exec_lo, s23
	s_or_b32 exec_lo, exec_lo, s12
	s_and_saveexec_b32 s12, s10
	s_cbranch_execnz .LBB0_490
	s_branch .LBB0_491
.LBB0_501:                              ;   in Loop: Header=BB0_21 Depth=1
	v_mov_b32_e32 v21, v70
	v_mov_b32_e32 v22, v71
	s_and_saveexec_b32 s12, s11
	s_cbranch_execz .LBB0_890
; %bb.502:                              ;   in Loop: Header=BB0_21 Depth=1
	flat_load_dword v52, v[23:24]
	v_and_b32_e32 v17, 7, v34
	s_waitcnt vmcnt(1) lgkmcnt(1)
	v_add_co_u32 v19, vcc_lo, v11, v47
	v_add_co_ci_u32_e64 v20, null, v12, v56, vcc_lo
	v_mul_lo_u32 v17, v17, s18
	v_add_nc_u32_e32 v83, 1, v34
	s_mov_b32 s22, 0
	v_ashrrev_i32_e32 v18, 31, v17
	v_lshlrev_b64 v[17:18], 4, v[17:18]
	s_waitcnt vmcnt(0) lgkmcnt(0)
	v_ashrrev_i32_e32 v70, 31, v52
	v_mul_lo_u32 v80, v99, v52
	v_mad_u64_u32 v[19:20], null, v98, v52, v[19:20]
	v_mul_lo_u32 v52, v98, v70
	v_add_co_u32 v70, vcc_lo, v113, v47
	v_add_co_ci_u32_e64 v71, null, v114, v56, vcc_lo
	v_add_co_u32 v84, vcc_lo, v32, v17
	v_add_co_ci_u32_e64 v85, null, v33, v18, vcc_lo
	v_add3_u32 v20, v80, v20, v52
	v_add_co_u32 v86, vcc_lo, v19, v101
	v_mov_b32_e32 v80, v4
	v_add_co_ci_u32_e64 v87, null, 0, v20, vcc_lo
	s_branch .LBB0_504
.LBB0_503:                              ;   in Loop: Header=BB0_504 Depth=2
	v_sub_nc_u32_e32 v45, v45, v102
	v_add_co_u32 v86, vcc_lo, v86, v102
	v_add_co_ci_u32_e64 v87, null, 0, v87, vcc_lo
	v_cmp_gt_i32_e32 vcc_lo, 1, v45
	v_add_co_u32 v70, s11, v70, v102
	v_add_co_ci_u32_e64 v71, null, 0, v71, s11
	v_add_nc_u32_e32 v80, v80, v1
	s_or_b32 s22, vcc_lo, s22
	s_andn2_b32 exec_lo, exec_lo, s22
	s_cbranch_execz .LBB0_902
.LBB0_504:                              ;   Parent Loop BB0_21 Depth=1
                                        ; =>  This Loop Header: Depth=2
                                        ;       Child Loop BB0_512 Depth 3
	v_and_b32_e32 v17, -4, v86
	v_mov_b32_e32 v18, v87
	v_min_u32_e32 v19, 8, v45
	v_and_b32_e32 v20, 3, v86
	v_mov_b32_e32 v96, 0
	v_mov_b32_e32 v97, 0
	global_load_dword v46, v[17:18], off slc
	s_mov_b32 s11, exec_lo
	v_add_nc_u32_e32 v52, v20, v19
	v_cmpx_lt_u32_e32 4, v52
	s_cbranch_execz .LBB0_506
; %bb.505:                              ;   in Loop: Header=BB0_504 Depth=2
	global_load_dword v97, v[17:18], off offset:4 slc
.LBB0_506:                              ;   in Loop: Header=BB0_504 Depth=2
	s_or_b32 exec_lo, exec_lo, s11
	s_mov_b32 s11, exec_lo
	v_cmpx_lt_u64_e32 8, v[52:53]
	s_cbranch_execz .LBB0_508
; %bb.507:                              ;   in Loop: Header=BB0_504 Depth=2
	global_load_dword v96, v[17:18], off offset:8 slc
.LBB0_508:                              ;   in Loop: Header=BB0_504 Depth=2
	s_or_b32 exec_lo, exec_lo, s11
	v_mov_b32_e32 v81, v53
	v_lshlrev_b64 v[17:18], 4, v[80:81]
	v_add_co_u32 v81, vcc_lo, v84, v17
	v_add_co_ci_u32_e64 v82, null, v85, v18, vcc_lo
	v_cmp_eq_u32_e32 vcc_lo, 0, v44
	v_mov_b32_e32 v44, 1
	global_load_dwordx4 v[17:20], v[81:82], off slc
	s_and_saveexec_b32 s23, vcc_lo
	s_cbranch_execz .LBB0_520
; %bb.509:                              ;   in Loop: Header=BB0_504 Depth=2
	s_waitcnt vmcnt(0)
	v_cmp_ne_u32_e32 vcc_lo, v83, v18
	v_cmp_ne_u32_e64 s11, v83, v20
	v_mov_b32_e32 v44, 0
	s_or_b32 s11, vcc_lo, s11
	s_and_saveexec_b32 s24, s11
	s_cbranch_execz .LBB0_519
; %bb.510:                              ;   in Loop: Header=BB0_504 Depth=2
	s_mov_b32 s28, 1
	s_mov_b32 s26, 0
                                        ; implicit-def: $sgpr25
                                        ; implicit-def: $sgpr27
	s_inst_prefetch 0x1
	s_branch .LBB0_512
	.p2align	6
.LBB0_511:                              ;   in Loop: Header=BB0_512 Depth=3
	s_or_b32 exec_lo, exec_lo, s40
	s_and_b32 s11, exec_lo, s11
	s_or_b32 s26, s11, s26
	s_andn2_b32 s11, s25, exec_lo
	s_and_b32 s25, s27, exec_lo
	s_or_b32 s25, s11, s25
	s_andn2_b32 exec_lo, exec_lo, s26
	s_cbranch_execz .LBB0_516
.LBB0_512:                              ;   Parent Loop BB0_21 Depth=1
                                        ;     Parent Loop BB0_504 Depth=2
                                        ; =>    This Inner Loop Header: Depth=3
	global_load_dwordx4 v[17:20], v[81:82], off slc
	s_add_i32 s28, s28, 1
	s_mov_b32 s11, -1
	s_cmpk_lg_i32 s28, 0x2710
	s_mov_b32 s29, -1
                                        ; implicit-def: $vgpr52
	s_cbranch_scc0 .LBB0_514
; %bb.513:                              ;   in Loop: Header=BB0_512 Depth=3
	s_or_b32 s27, s27, exec_lo
	s_and_saveexec_b32 s40, s29
	s_cbranch_execz .LBB0_511
	s_branch .LBB0_515
	.p2align	6
.LBB0_514:                              ;   in Loop: Header=BB0_512 Depth=3
	s_trap 2
	ds_read_b64 v[56:57], v0
	s_mov_b32 s28, 0
	s_waitcnt vmcnt(0) lgkmcnt(0)
	s_waitcnt_vscnt null, 0x0
	flat_load_dword v52, v[56:57] glc dlc
	s_waitcnt vmcnt(0) lgkmcnt(0)
	buffer_gl1_inv
	buffer_gl0_inv
	v_cmp_eq_u32_e32 vcc_lo, 0, v52
	s_orn2_b32 s29, vcc_lo, exec_lo
	s_or_b32 s27, s27, exec_lo
	s_and_saveexec_b32 s40, s29
	s_cbranch_execz .LBB0_511
.LBB0_515:                              ;   in Loop: Header=BB0_512 Depth=3
	s_waitcnt vmcnt(0)
	v_cmp_eq_u32_e32 vcc_lo, v83, v18
	v_cmp_eq_u32_e64 s11, v83, v20
	s_andn2_b32 s27, s27, exec_lo
	s_and_b32 s11, vcc_lo, s11
	s_orn2_b32 s11, s11, exec_lo
	s_branch .LBB0_511
.LBB0_516:                              ;   in Loop: Header=BB0_504 Depth=2
	s_inst_prefetch 0x2
	s_or_b32 exec_lo, exec_lo, s26
	v_mov_b32_e32 v44, 0
	s_and_saveexec_b32 s11, s25
	s_xor_b32 s11, exec_lo, s11
	s_cbranch_execz .LBB0_518
; %bb.517:                              ;   in Loop: Header=BB0_504 Depth=2
	v_mov_b32_e32 v44, 1
	s_waitcnt vmcnt(0)
	s_waitcnt_vscnt null, 0x0
	ds_write_b32 v0, v52
	s_trap 2
.LBB0_518:                              ;   in Loop: Header=BB0_504 Depth=2
	s_or_b32 exec_lo, exec_lo, s11
.LBB0_519:                              ;   in Loop: Header=BB0_504 Depth=2
	s_or_b32 exec_lo, exec_lo, s24
.LBB0_520:                              ;   in Loop: Header=BB0_504 Depth=2
	s_or_b32 exec_lo, exec_lo, s23
	s_waitcnt vmcnt(0)
	v_lshlrev_b32_e32 v20, 3, v86
                                        ; implicit-def: $vgpr52
	v_alignbit_b32 v82, v97, v46, v20
	s_and_saveexec_b32 s11, s9
	s_xor_b32 s11, exec_lo, s11
	s_cbranch_execz .LBB0_534
; %bb.521:                              ;   in Loop: Header=BB0_504 Depth=2
	v_cmp_gt_i16_sdwa s24, v17, v119 src0_sel:BYTE_0 src1_sel:DWORD
	s_mov_b32 s23, 0
	s_and_saveexec_b32 s25, s24
	s_xor_b32 s24, exec_lo, s25
	s_cbranch_execz .LBB0_826
; %bb.522:                              ;   in Loop: Header=BB0_504 Depth=2
	v_cmp_eq_u16_sdwa s26, v17, v40 src0_sel:BYTE_0 src1_sel:DWORD
	s_mov_b32 s23, -1
	s_and_saveexec_b32 s25, s26
; %bb.523:                              ;   in Loop: Header=BB0_504 Depth=2
	s_xor_b32 s23, exec_lo, -1
; %bb.524:                              ;   in Loop: Header=BB0_504 Depth=2
	s_or_b32 exec_lo, exec_lo, s25
	s_and_b32 s23, s23, exec_lo
	s_or_saveexec_b32 s24, s24
	v_mov_b32_e32 v18, 0x7f800001
	s_xor_b32 exec_lo, exec_lo, s24
	s_cbranch_execnz .LBB0_827
.LBB0_525:                              ;   in Loop: Header=BB0_504 Depth=2
	s_or_b32 exec_lo, exec_lo, s24
	s_and_saveexec_b32 s24, s23
	s_cbranch_execz .LBB0_527
.LBB0_526:                              ;   in Loop: Header=BB0_504 Depth=2
	v_and_b32_e32 v18, 3, v17
	v_bfe_u32 v46, v17, 2, 5
	v_lshlrev_b32_e32 v47, 24, v17
	v_ffbh_u32_e32 v52, v18
	v_cmp_eq_u32_e32 vcc_lo, 0, v46
	v_min_u32_e32 v52, 32, v52
	v_subrev_nc_u32_e32 v81, 29, v52
	v_sub_nc_u32_e32 v52, 30, v52
	v_lshlrev_b32_e32 v81, v81, v17
	v_cndmask_b32_e32 v52, v46, v52, vcc_lo
	v_and_b32_e32 v81, 3, v81
	v_lshl_add_u32 v52, v52, 23, 0x37800000
	v_cndmask_b32_e32 v18, v18, v81, vcc_lo
	v_and_b32_e32 v81, 0x80000000, v47
	v_lshlrev_b32_e32 v18, 21, v18
	v_or3_b32 v18, v81, v52, v18
.LBB0_527:                              ;   in Loop: Header=BB0_504 Depth=2
	s_or_b32 exec_lo, exec_lo, s24
	v_cmp_gt_i16_sdwa s24, v82, v119 src0_sel:BYTE_0 src1_sel:DWORD
	s_mov_b32 s23, 0
	s_and_saveexec_b32 s25, s24
	s_xor_b32 s24, exec_lo, s25
	s_cbranch_execz .LBB0_828
; %bb.528:                              ;   in Loop: Header=BB0_504 Depth=2
	v_cmp_eq_u16_sdwa s26, v82, v40 src0_sel:BYTE_0 src1_sel:DWORD
	s_mov_b32 s23, -1
	s_and_saveexec_b32 s25, s26
; %bb.529:                              ;   in Loop: Header=BB0_504 Depth=2
	s_xor_b32 s23, exec_lo, -1
; %bb.530:                              ;   in Loop: Header=BB0_504 Depth=2
	s_or_b32 exec_lo, exec_lo, s25
	s_and_b32 s23, s23, exec_lo
	s_or_saveexec_b32 s24, s24
	v_mov_b32_e32 v52, 0x7f800001
	s_xor_b32 exec_lo, exec_lo, s24
	s_cbranch_execnz .LBB0_829
.LBB0_531:                              ;   in Loop: Header=BB0_504 Depth=2
	s_or_b32 exec_lo, exec_lo, s24
	s_and_saveexec_b32 s24, s23
	s_cbranch_execz .LBB0_533
.LBB0_532:                              ;   in Loop: Header=BB0_504 Depth=2
	v_and_b32_e32 v52, 3, v82
	v_bfe_u32 v47, v82, 2, 5
	v_lshlrev_b32_e32 v56, 24, v82
	v_ffbh_u32_e32 v81, v52
	v_cmp_eq_u32_e32 vcc_lo, 0, v47
	v_min_u32_e32 v81, 32, v81
	v_subrev_nc_u32_e32 v46, 29, v81
	v_sub_nc_u32_e32 v81, 30, v81
	v_lshlrev_b32_e32 v46, v46, v82
	v_cndmask_b32_e32 v81, v47, v81, vcc_lo
	v_and_b32_e32 v46, 3, v46
	v_lshl_add_u32 v81, v81, 23, 0x37800000
	v_cndmask_b32_e32 v52, v52, v46, vcc_lo
	v_and_b32_e32 v46, 0x80000000, v56
	v_lshlrev_b32_e32 v52, 21, v52
	v_or3_b32 v52, v46, v81, v52
.LBB0_533:                              ;   in Loop: Header=BB0_504 Depth=2
	s_or_b32 exec_lo, exec_lo, s24
	v_max_f32_e32 v52, v52, v52
	v_max_f32_e32 v18, v18, v18
	;; [unrolled: 1-line block ×3, first 2 shown]
.LBB0_534:                              ;   in Loop: Header=BB0_504 Depth=2
	s_andn2_saveexec_b32 s11, s11
	s_cbranch_execz .LBB0_548
; %bb.535:                              ;   in Loop: Header=BB0_504 Depth=2
	v_cmp_gt_i16_sdwa s24, v17, v119 src0_sel:BYTE_0 src1_sel:DWORD
	s_mov_b32 s23, 0
	s_and_saveexec_b32 s25, s24
	s_xor_b32 s24, exec_lo, s25
	s_cbranch_execz .LBB0_830
; %bb.536:                              ;   in Loop: Header=BB0_504 Depth=2
	v_cmp_eq_u16_sdwa s26, v17, v40 src0_sel:BYTE_0 src1_sel:DWORD
	s_mov_b32 s23, -1
	s_and_saveexec_b32 s25, s26
; %bb.537:                              ;   in Loop: Header=BB0_504 Depth=2
	s_xor_b32 s23, exec_lo, -1
; %bb.538:                              ;   in Loop: Header=BB0_504 Depth=2
	s_or_b32 exec_lo, exec_lo, s25
	s_and_b32 s23, s23, exec_lo
	s_or_saveexec_b32 s24, s24
	v_mov_b32_e32 v18, 0x7f800001
	s_xor_b32 exec_lo, exec_lo, s24
	s_cbranch_execnz .LBB0_831
.LBB0_539:                              ;   in Loop: Header=BB0_504 Depth=2
	s_or_b32 exec_lo, exec_lo, s24
	s_and_saveexec_b32 s24, s23
	s_cbranch_execz .LBB0_541
.LBB0_540:                              ;   in Loop: Header=BB0_504 Depth=2
	v_and_b32_e32 v18, 3, v17
	v_bfe_u32 v46, v17, 2, 5
	v_lshlrev_b32_e32 v47, 24, v17
	v_ffbh_u32_e32 v52, v18
	v_cmp_eq_u32_e32 vcc_lo, 0, v46
	v_min_u32_e32 v52, 32, v52
	v_subrev_nc_u32_e32 v81, 29, v52
	v_sub_nc_u32_e32 v52, 30, v52
	v_lshlrev_b32_e32 v81, v81, v17
	v_cndmask_b32_e32 v52, v46, v52, vcc_lo
	v_and_b32_e32 v81, 3, v81
	v_lshl_add_u32 v52, v52, 23, 0x37800000
	v_cndmask_b32_e32 v18, v18, v81, vcc_lo
	v_and_b32_e32 v81, 0x80000000, v47
	v_lshlrev_b32_e32 v18, 21, v18
	v_or3_b32 v18, v81, v52, v18
.LBB0_541:                              ;   in Loop: Header=BB0_504 Depth=2
	s_or_b32 exec_lo, exec_lo, s24
	v_cmp_gt_i16_sdwa s24, v82, v119 src0_sel:BYTE_0 src1_sel:DWORD
	s_mov_b32 s23, 0
	s_and_saveexec_b32 s25, s24
	s_xor_b32 s24, exec_lo, s25
	s_cbranch_execz .LBB0_832
; %bb.542:                              ;   in Loop: Header=BB0_504 Depth=2
	v_cmp_eq_u16_sdwa s26, v82, v40 src0_sel:BYTE_0 src1_sel:DWORD
	s_mov_b32 s23, -1
	s_and_saveexec_b32 s25, s26
; %bb.543:                              ;   in Loop: Header=BB0_504 Depth=2
	s_xor_b32 s23, exec_lo, -1
; %bb.544:                              ;   in Loop: Header=BB0_504 Depth=2
	s_or_b32 exec_lo, exec_lo, s25
	s_and_b32 s23, s23, exec_lo
	s_or_saveexec_b32 s24, s24
	v_mov_b32_e32 v52, 0x7f800001
	s_xor_b32 exec_lo, exec_lo, s24
	s_cbranch_execnz .LBB0_833
.LBB0_545:                              ;   in Loop: Header=BB0_504 Depth=2
	s_or_b32 exec_lo, exec_lo, s24
	s_and_saveexec_b32 s24, s23
	s_cbranch_execz .LBB0_547
.LBB0_546:                              ;   in Loop: Header=BB0_504 Depth=2
	v_and_b32_e32 v52, 3, v82
	v_bfe_u32 v47, v82, 2, 5
	v_lshlrev_b32_e32 v56, 24, v82
	v_ffbh_u32_e32 v81, v52
	v_cmp_eq_u32_e32 vcc_lo, 0, v47
	v_min_u32_e32 v81, 32, v81
	v_subrev_nc_u32_e32 v46, 29, v81
	v_sub_nc_u32_e32 v81, 30, v81
	v_lshlrev_b32_e32 v46, v46, v82
	v_cndmask_b32_e32 v81, v47, v81, vcc_lo
	v_and_b32_e32 v46, 3, v46
	v_lshl_add_u32 v81, v81, 23, 0x37800000
	v_cndmask_b32_e32 v52, v52, v46, vcc_lo
	v_and_b32_e32 v46, 0x80000000, v56
	v_lshlrev_b32_e32 v52, 21, v52
	v_or3_b32 v52, v46, v81, v52
.LBB0_547:                              ;   in Loop: Header=BB0_504 Depth=2
	s_or_b32 exec_lo, exec_lo, s24
	v_max_f32_e32 v52, v52, v52
	v_max_f32_e32 v18, v18, v18
	v_min_f32_e32 v52, v18, v52
.LBB0_548:                              ;   in Loop: Header=BB0_504 Depth=2
	s_or_b32 exec_lo, exec_lo, s11
	v_and_b32_e32 v18, 0x7f800000, v52
	v_cmp_ne_u32_e32 vcc_lo, 0x7f800000, v18
	v_mov_b32_e32 v18, 0x80
	s_and_saveexec_b32 s23, vcc_lo
	s_cbranch_execz .LBB0_556
; %bb.549:                              ;   in Loop: Header=BB0_504 Depth=2
	v_mov_b32_e32 v18, 0
	s_mov_b32 s24, exec_lo
	v_cmpx_ne_u32_e32 0, v52
	s_cbranch_execz .LBB0_555
; %bb.550:                              ;   in Loop: Header=BB0_504 Depth=2
	v_bfe_u32 v18, v52, 23, 8
	v_and_b32_e32 v81, 0x7fffff, v52
	v_sub_nc_u32_e32 v46, 0x70, v18
	v_cmp_gt_u32_e32 vcc_lo, 0x71, v18
	v_or_b32_e32 v47, 0x800000, v81
	v_cndmask_b32_e32 v46, 0, v46, vcc_lo
	v_cmp_eq_u32_e32 vcc_lo, 0, v18
	v_add_nc_u32_e32 v18, 0xffffff91, v18
	v_cndmask_b32_e64 v46, v46, 0x6f, vcc_lo
	v_cndmask_b32_e32 v81, v47, v81, vcc_lo
	v_cndmask_b32_e64 v18, v18, 0xffffff92, vcc_lo
	v_lshl_add_u32 v47, 0x200000, v46, -1
	v_lshrrev_b32_e32 v56, v46, v81
	v_lshlrev_b32_e64 v58, v46, 0x100000
	v_add_nc_u32_e32 v46, v46, v18
	v_and_b32_e32 v81, v47, v81
	v_bfe_u32 v57, v56, 21, 1
	v_cmp_eq_u32_e64 s11, v81, v58
	v_add_nc_u32_e32 v47, -1, v57
	v_cndmask_b32_e64 v81, 0, v47, s11
	v_lshrrev_b32_e32 v47, 23, v56
	s_mov_b32 s11, exec_lo
	v_add_nc_u32_e32 v81, v81, v56
	v_xor_b32_e32 v47, 1, v47
	v_and_b32_e32 v18, 0x1fffff, v81
	v_add_nc_u32_e32 v81, v18, v56
                                        ; implicit-def: $vgpr18
	v_cmpx_ne_u32_e64 v46, v47
	s_xor_b32 s11, exec_lo, s11
; %bb.551:                              ;   in Loop: Header=BB0_504 Depth=2
	v_cmp_lt_u32_e32 vcc_lo, 0xffffff, v81
	v_sub_nc_u32_e32 v18, v46, v47
	v_cndmask_b32_e64 v46, 0, 1, vcc_lo
	v_add_co_ci_u32_e64 v18, null, 0, v18, vcc_lo
	v_lshrrev_b32_e32 v81, v46, v81
; %bb.552:                              ;   in Loop: Header=BB0_504 Depth=2
	s_andn2_saveexec_b32 s11, s11
; %bb.553:                              ;   in Loop: Header=BB0_504 Depth=2
	v_bfe_u32 v18, v81, 23, 1
; %bb.554:                              ;   in Loop: Header=BB0_504 Depth=2
	s_or_b32 exec_lo, exec_lo, s11
	v_lshrrev_b32_e32 v81, 21, v81
	v_min_i32_e32 v46, 31, v18
	v_cmp_gt_i32_e32 vcc_lo, 32, v18
	v_and_b32_sdwa v52, v52, v40 dst_sel:DWORD dst_unused:UNUSED_PAD src0_sel:BYTE_3 src1_sel:DWORD
	v_lshlrev_b32_e32 v46, 2, v46
	v_cndmask_b32_e32 v81, 3, v81, vcc_lo
	v_and_b32_e32 v46, 0xfc, v46
	v_and_b32_e32 v47, 3, v81
	v_or_b32_e32 v18, v18, v81
	v_or3_b32 v52, v46, v52, v47
	v_cmp_ne_u32_e32 vcc_lo, 0, v18
	v_cndmask_b32_e32 v18, 0, v52, vcc_lo
.LBB0_555:                              ;   in Loop: Header=BB0_504 Depth=2
	s_or_b32 exec_lo, exec_lo, s24
.LBB0_556:                              ;   in Loop: Header=BB0_504 Depth=2
	s_or_b32 exec_lo, exec_lo, s23
                                        ; implicit-def: $vgpr81
	s_and_saveexec_b32 s11, s9
	s_xor_b32 s11, exec_lo, s11
	s_cbranch_execz .LBB0_570
; %bb.557:                              ;   in Loop: Header=BB0_504 Depth=2
	v_cmp_gt_i16_sdwa s24, v17, v119 src0_sel:BYTE_1 src1_sel:DWORD
	s_mov_b32 s23, 0
	s_and_saveexec_b32 s25, s24
	s_xor_b32 s24, exec_lo, s25
	s_cbranch_execz .LBB0_834
; %bb.558:                              ;   in Loop: Header=BB0_504 Depth=2
	v_cmp_eq_u16_sdwa s26, v17, v40 src0_sel:BYTE_1 src1_sel:DWORD
	s_mov_b32 s23, -1
	s_and_saveexec_b32 s25, s26
; %bb.559:                              ;   in Loop: Header=BB0_504 Depth=2
	s_xor_b32 s23, exec_lo, -1
; %bb.560:                              ;   in Loop: Header=BB0_504 Depth=2
	s_or_b32 exec_lo, exec_lo, s25
	s_and_b32 s23, s23, exec_lo
	s_or_saveexec_b32 s24, s24
	v_mov_b32_e32 v52, 0x7f800001
	s_xor_b32 exec_lo, exec_lo, s24
	s_cbranch_execnz .LBB0_835
.LBB0_561:                              ;   in Loop: Header=BB0_504 Depth=2
	s_or_b32 exec_lo, exec_lo, s24
	s_and_saveexec_b32 s24, s23
	s_cbranch_execz .LBB0_563
.LBB0_562:                              ;   in Loop: Header=BB0_504 Depth=2
	v_and_b32_sdwa v52, v41, v17 dst_sel:DWORD dst_unused:UNUSED_PAD src0_sel:DWORD src1_sel:BYTE_1
	v_and_b32_e32 v81, 3, v52
	v_bfe_u32 v56, v52, 2, 5
	v_ffbh_u32_e32 v46, v81
	v_cmp_eq_u32_e32 vcc_lo, 0, v56
	v_min_u32_e32 v46, 32, v46
	v_subrev_nc_u32_e32 v47, 29, v46
	v_sub_nc_u32_e32 v46, 30, v46
	v_lshlrev_b32_e32 v52, v47, v52
	v_lshlrev_b32_e32 v47, 16, v17
	v_cndmask_b32_e32 v46, v56, v46, vcc_lo
	v_and_b32_e32 v52, 3, v52
	v_lshl_add_u32 v46, v46, 23, 0x37800000
	v_cndmask_b32_e32 v52, v81, v52, vcc_lo
	v_and_b32_e32 v81, 0x80000000, v47
	v_lshlrev_b32_e32 v52, 21, v52
	v_or3_b32 v52, v81, v46, v52
.LBB0_563:                              ;   in Loop: Header=BB0_504 Depth=2
	s_or_b32 exec_lo, exec_lo, s24
	v_cmp_gt_i16_sdwa s24, v82, v119 src0_sel:BYTE_1 src1_sel:DWORD
	s_mov_b32 s23, 0
	s_and_saveexec_b32 s25, s24
	s_xor_b32 s24, exec_lo, s25
	s_cbranch_execz .LBB0_836
; %bb.564:                              ;   in Loop: Header=BB0_504 Depth=2
	v_cmp_eq_u16_sdwa s26, v82, v40 src0_sel:BYTE_1 src1_sel:DWORD
	s_mov_b32 s23, -1
	s_and_saveexec_b32 s25, s26
; %bb.565:                              ;   in Loop: Header=BB0_504 Depth=2
	s_xor_b32 s23, exec_lo, -1
; %bb.566:                              ;   in Loop: Header=BB0_504 Depth=2
	s_or_b32 exec_lo, exec_lo, s25
	s_and_b32 s23, s23, exec_lo
	s_or_saveexec_b32 s24, s24
	v_mov_b32_e32 v81, 0x7f800001
	s_xor_b32 exec_lo, exec_lo, s24
	s_cbranch_execnz .LBB0_837
.LBB0_567:                              ;   in Loop: Header=BB0_504 Depth=2
	s_or_b32 exec_lo, exec_lo, s24
	s_and_saveexec_b32 s24, s23
	s_cbranch_execz .LBB0_569
.LBB0_568:                              ;   in Loop: Header=BB0_504 Depth=2
	v_and_b32_sdwa v81, v41, v82 dst_sel:DWORD dst_unused:UNUSED_PAD src0_sel:DWORD src1_sel:BYTE_1
	v_and_b32_e32 v46, 3, v81
	v_bfe_u32 v57, v81, 2, 5
	v_ffbh_u32_e32 v47, v46
	v_cmp_eq_u32_e32 vcc_lo, 0, v57
	v_min_u32_e32 v47, 32, v47
	v_subrev_nc_u32_e32 v56, 29, v47
	v_sub_nc_u32_e32 v47, 30, v47
	v_lshlrev_b32_e32 v81, v56, v81
	v_lshlrev_b32_e32 v56, 16, v82
	v_cndmask_b32_e32 v47, v57, v47, vcc_lo
	v_and_b32_e32 v81, 3, v81
	v_lshl_add_u32 v47, v47, 23, 0x37800000
	v_cndmask_b32_e32 v81, v46, v81, vcc_lo
	v_and_b32_e32 v46, 0x80000000, v56
	v_lshlrev_b32_e32 v81, 21, v81
	v_or3_b32 v81, v46, v47, v81
.LBB0_569:                              ;   in Loop: Header=BB0_504 Depth=2
	s_or_b32 exec_lo, exec_lo, s24
	v_max_f32_e32 v81, v81, v81
	v_max_f32_e32 v52, v52, v52
	;; [unrolled: 1-line block ×3, first 2 shown]
	s_andn2_saveexec_b32 s11, s11
	s_cbranch_execz .LBB0_584
	s_branch .LBB0_571
.LBB0_570:                              ;   in Loop: Header=BB0_504 Depth=2
	s_andn2_saveexec_b32 s11, s11
	s_cbranch_execz .LBB0_584
.LBB0_571:                              ;   in Loop: Header=BB0_504 Depth=2
	v_cmp_gt_i16_sdwa s24, v17, v119 src0_sel:BYTE_1 src1_sel:DWORD
	s_mov_b32 s23, 0
	s_and_saveexec_b32 s25, s24
	s_xor_b32 s24, exec_lo, s25
	s_cbranch_execz .LBB0_838
; %bb.572:                              ;   in Loop: Header=BB0_504 Depth=2
	v_cmp_eq_u16_sdwa s26, v17, v40 src0_sel:BYTE_1 src1_sel:DWORD
	s_mov_b32 s23, -1
	s_and_saveexec_b32 s25, s26
; %bb.573:                              ;   in Loop: Header=BB0_504 Depth=2
	s_xor_b32 s23, exec_lo, -1
; %bb.574:                              ;   in Loop: Header=BB0_504 Depth=2
	s_or_b32 exec_lo, exec_lo, s25
	s_and_b32 s23, s23, exec_lo
	s_or_saveexec_b32 s24, s24
	v_mov_b32_e32 v52, 0x7f800001
	s_xor_b32 exec_lo, exec_lo, s24
	s_cbranch_execnz .LBB0_839
.LBB0_575:                              ;   in Loop: Header=BB0_504 Depth=2
	s_or_b32 exec_lo, exec_lo, s24
	s_and_saveexec_b32 s24, s23
	s_cbranch_execz .LBB0_577
.LBB0_576:                              ;   in Loop: Header=BB0_504 Depth=2
	v_and_b32_sdwa v52, v41, v17 dst_sel:DWORD dst_unused:UNUSED_PAD src0_sel:DWORD src1_sel:BYTE_1
	v_and_b32_e32 v81, 3, v52
	v_bfe_u32 v56, v52, 2, 5
	v_ffbh_u32_e32 v46, v81
	v_cmp_eq_u32_e32 vcc_lo, 0, v56
	v_min_u32_e32 v46, 32, v46
	v_subrev_nc_u32_e32 v47, 29, v46
	v_sub_nc_u32_e32 v46, 30, v46
	v_lshlrev_b32_e32 v52, v47, v52
	v_lshlrev_b32_e32 v47, 16, v17
	v_cndmask_b32_e32 v46, v56, v46, vcc_lo
	v_and_b32_e32 v52, 3, v52
	v_lshl_add_u32 v46, v46, 23, 0x37800000
	v_cndmask_b32_e32 v52, v81, v52, vcc_lo
	v_and_b32_e32 v81, 0x80000000, v47
	v_lshlrev_b32_e32 v52, 21, v52
	v_or3_b32 v52, v81, v46, v52
.LBB0_577:                              ;   in Loop: Header=BB0_504 Depth=2
	s_or_b32 exec_lo, exec_lo, s24
	v_cmp_gt_i16_sdwa s24, v82, v119 src0_sel:BYTE_1 src1_sel:DWORD
	s_mov_b32 s23, 0
	s_and_saveexec_b32 s25, s24
	s_xor_b32 s24, exec_lo, s25
	s_cbranch_execz .LBB0_840
; %bb.578:                              ;   in Loop: Header=BB0_504 Depth=2
	v_cmp_eq_u16_sdwa s26, v82, v40 src0_sel:BYTE_1 src1_sel:DWORD
	s_mov_b32 s23, -1
	s_and_saveexec_b32 s25, s26
; %bb.579:                              ;   in Loop: Header=BB0_504 Depth=2
	s_xor_b32 s23, exec_lo, -1
; %bb.580:                              ;   in Loop: Header=BB0_504 Depth=2
	s_or_b32 exec_lo, exec_lo, s25
	s_and_b32 s23, s23, exec_lo
	s_or_saveexec_b32 s24, s24
	v_mov_b32_e32 v81, 0x7f800001
	s_xor_b32 exec_lo, exec_lo, s24
	s_cbranch_execnz .LBB0_841
.LBB0_581:                              ;   in Loop: Header=BB0_504 Depth=2
	s_or_b32 exec_lo, exec_lo, s24
	s_and_saveexec_b32 s24, s23
	s_cbranch_execz .LBB0_583
.LBB0_582:                              ;   in Loop: Header=BB0_504 Depth=2
	v_and_b32_sdwa v81, v41, v82 dst_sel:DWORD dst_unused:UNUSED_PAD src0_sel:DWORD src1_sel:BYTE_1
	v_and_b32_e32 v46, 3, v81
	v_bfe_u32 v57, v81, 2, 5
	v_ffbh_u32_e32 v47, v46
	v_cmp_eq_u32_e32 vcc_lo, 0, v57
	v_min_u32_e32 v47, 32, v47
	v_subrev_nc_u32_e32 v56, 29, v47
	v_sub_nc_u32_e32 v47, 30, v47
	v_lshlrev_b32_e32 v81, v56, v81
	v_lshlrev_b32_e32 v56, 16, v82
	v_cndmask_b32_e32 v47, v57, v47, vcc_lo
	v_and_b32_e32 v81, 3, v81
	v_lshl_add_u32 v47, v47, 23, 0x37800000
	v_cndmask_b32_e32 v81, v46, v81, vcc_lo
	v_and_b32_e32 v46, 0x80000000, v56
	v_lshlrev_b32_e32 v81, 21, v81
	v_or3_b32 v81, v46, v47, v81
.LBB0_583:                              ;   in Loop: Header=BB0_504 Depth=2
	s_or_b32 exec_lo, exec_lo, s24
	v_max_f32_e32 v81, v81, v81
	v_max_f32_e32 v52, v52, v52
	v_min_f32_e32 v81, v52, v81
.LBB0_584:                              ;   in Loop: Header=BB0_504 Depth=2
	s_or_b32 exec_lo, exec_lo, s11
	v_and_b32_e32 v52, 0x7f800000, v81
	v_cmp_ne_u32_e32 vcc_lo, 0x7f800000, v52
	v_mov_b32_e32 v52, 0x8000
	s_and_saveexec_b32 s23, vcc_lo
	s_cbranch_execz .LBB0_592
; %bb.585:                              ;   in Loop: Header=BB0_504 Depth=2
	v_mov_b32_e32 v52, 0
	s_mov_b32 s24, exec_lo
	v_cmpx_ne_u32_e32 0, v81
	s_cbranch_execz .LBB0_591
; %bb.586:                              ;   in Loop: Header=BB0_504 Depth=2
	v_bfe_u32 v52, v81, 23, 8
	v_and_b32_e32 v46, 0x7fffff, v81
	v_sub_nc_u32_e32 v47, 0x70, v52
	v_cmp_gt_u32_e32 vcc_lo, 0x71, v52
	v_or_b32_e32 v56, 0x800000, v46
	v_cndmask_b32_e32 v47, 0, v47, vcc_lo
	v_cmp_eq_u32_e32 vcc_lo, 0, v52
	v_add_nc_u32_e32 v52, 0xffffff91, v52
	v_cndmask_b32_e64 v47, v47, 0x6f, vcc_lo
	v_cndmask_b32_e32 v46, v56, v46, vcc_lo
	v_cndmask_b32_e64 v52, v52, 0xffffff92, vcc_lo
	v_lshl_add_u32 v56, 0x200000, v47, -1
	v_lshrrev_b32_e32 v57, v47, v46
	v_lshlrev_b32_e64 v59, v47, 0x100000
	v_add_nc_u32_e32 v47, v47, v52
	v_and_b32_e32 v46, v56, v46
	v_bfe_u32 v58, v57, 21, 1
	v_cmp_eq_u32_e64 s11, v46, v59
	v_add_nc_u32_e32 v56, -1, v58
	v_cndmask_b32_e64 v46, 0, v56, s11
	v_lshrrev_b32_e32 v56, 23, v57
	s_mov_b32 s11, exec_lo
	v_add_nc_u32_e32 v46, v46, v57
	v_xor_b32_e32 v56, 1, v56
	v_and_b32_e32 v52, 0x1fffff, v46
	v_add_nc_u32_e32 v46, v52, v57
                                        ; implicit-def: $vgpr52
	v_cmpx_ne_u32_e64 v47, v56
	s_xor_b32 s11, exec_lo, s11
; %bb.587:                              ;   in Loop: Header=BB0_504 Depth=2
	v_cmp_lt_u32_e32 vcc_lo, 0xffffff, v46
	v_sub_nc_u32_e32 v52, v47, v56
	v_cndmask_b32_e64 v47, 0, 1, vcc_lo
	v_add_co_ci_u32_e64 v52, null, 0, v52, vcc_lo
	v_lshrrev_b32_e32 v46, v47, v46
; %bb.588:                              ;   in Loop: Header=BB0_504 Depth=2
	s_andn2_saveexec_b32 s11, s11
; %bb.589:                              ;   in Loop: Header=BB0_504 Depth=2
	v_bfe_u32 v52, v46, 23, 1
; %bb.590:                              ;   in Loop: Header=BB0_504 Depth=2
	s_or_b32 exec_lo, exec_lo, s11
	v_lshrrev_b32_e32 v46, 21, v46
	v_min_i32_e32 v47, 31, v52
	v_cmp_gt_i32_e32 vcc_lo, 32, v52
	v_and_b32_sdwa v81, v81, v40 dst_sel:DWORD dst_unused:UNUSED_PAD src0_sel:BYTE_3 src1_sel:DWORD
	v_lshlrev_b32_e32 v47, 2, v47
	v_cndmask_b32_e32 v46, 3, v46, vcc_lo
	v_and_b32_e32 v47, 0xfc, v47
	v_and_b32_e32 v56, 3, v46
	v_or_b32_e32 v52, v52, v46
	v_or3_b32 v81, v81, v47, v56
	v_cmp_ne_u32_e32 vcc_lo, 0, v52
	v_lshlrev_b32_e32 v81, 8, v81
	v_cndmask_b32_e32 v52, 0, v81, vcc_lo
.LBB0_591:                              ;   in Loop: Header=BB0_504 Depth=2
	s_or_b32 exec_lo, exec_lo, s24
.LBB0_592:                              ;   in Loop: Header=BB0_504 Depth=2
	s_or_b32 exec_lo, exec_lo, s23
                                        ; implicit-def: $vgpr46
	s_and_saveexec_b32 s11, s9
	s_xor_b32 s11, exec_lo, s11
	s_cbranch_execz .LBB0_606
; %bb.593:                              ;   in Loop: Header=BB0_504 Depth=2
	v_and_b32_sdwa v46, v17, v42 dst_sel:DWORD dst_unused:UNUSED_PAD src0_sel:WORD_1 src1_sel:DWORD
	s_mov_b32 s23, 0
	s_mov_b32 s24, exec_lo
	v_cmpx_lt_i16_e32 0x7f, v46
	s_xor_b32 s24, exec_lo, s24
	s_cbranch_execz .LBB0_842
; %bb.594:                              ;   in Loop: Header=BB0_504 Depth=2
	s_mov_b32 s23, -1
	s_mov_b32 s25, exec_lo
	v_cmpx_eq_u16_e32 0x80, v46
; %bb.595:                              ;   in Loop: Header=BB0_504 Depth=2
	s_xor_b32 s23, exec_lo, -1
; %bb.596:                              ;   in Loop: Header=BB0_504 Depth=2
	s_or_b32 exec_lo, exec_lo, s25
	s_and_b32 s23, s23, exec_lo
                                        ; implicit-def: $vgpr46
	s_or_saveexec_b32 s24, s24
	v_mov_b32_e32 v81, 0x7f800001
	s_xor_b32 exec_lo, exec_lo, s24
	s_cbranch_execnz .LBB0_843
.LBB0_597:                              ;   in Loop: Header=BB0_504 Depth=2
	s_or_b32 exec_lo, exec_lo, s24
	s_and_saveexec_b32 s24, s23
	s_cbranch_execz .LBB0_599
.LBB0_598:                              ;   in Loop: Header=BB0_504 Depth=2
	v_bfe_u32 v81, v17, 16, 2
	v_bfe_u32 v56, v17, 18, 5
	v_lshlrev_b32_sdwa v57, v43, v17 dst_sel:DWORD dst_unused:UNUSED_PAD src0_sel:DWORD src1_sel:WORD_1
	v_ffbh_u32_e32 v46, v81
	v_cmp_eq_u32_e32 vcc_lo, 0, v56
	v_min_u32_e32 v46, 32, v46
	v_subrev_nc_u32_e32 v47, 29, v46
	v_sub_nc_u32_e32 v46, 30, v46
	v_lshlrev_b32_sdwa v47, v47, v17 dst_sel:DWORD dst_unused:UNUSED_PAD src0_sel:DWORD src1_sel:WORD_1
	v_cndmask_b32_e32 v46, v56, v46, vcc_lo
	v_and_b32_e32 v47, 3, v47
	v_lshl_add_u32 v46, v46, 23, 0x37800000
	v_cndmask_b32_e32 v81, v81, v47, vcc_lo
	v_and_b32_e32 v47, 0x80000000, v57
	v_lshlrev_b32_e32 v81, 21, v81
	v_or3_b32 v81, v47, v46, v81
.LBB0_599:                              ;   in Loop: Header=BB0_504 Depth=2
	s_or_b32 exec_lo, exec_lo, s24
	v_and_b32_sdwa v47, v82, v42 dst_sel:DWORD dst_unused:UNUSED_PAD src0_sel:WORD_1 src1_sel:DWORD
	s_mov_b32 s23, 0
	s_mov_b32 s24, exec_lo
	v_cmpx_lt_i16_e32 0x7f, v47
	s_xor_b32 s24, exec_lo, s24
	s_cbranch_execz .LBB0_844
; %bb.600:                              ;   in Loop: Header=BB0_504 Depth=2
	s_mov_b32 s23, -1
	s_mov_b32 s25, exec_lo
	v_cmpx_eq_u16_e32 0x80, v47
; %bb.601:                              ;   in Loop: Header=BB0_504 Depth=2
	s_xor_b32 s23, exec_lo, -1
; %bb.602:                              ;   in Loop: Header=BB0_504 Depth=2
	s_or_b32 exec_lo, exec_lo, s25
	s_and_b32 s23, s23, exec_lo
                                        ; implicit-def: $vgpr47
	s_or_saveexec_b32 s24, s24
	v_mov_b32_e32 v46, 0x7f800001
	s_xor_b32 exec_lo, exec_lo, s24
	s_cbranch_execnz .LBB0_845
.LBB0_603:                              ;   in Loop: Header=BB0_504 Depth=2
	s_or_b32 exec_lo, exec_lo, s24
	s_and_saveexec_b32 s24, s23
	s_cbranch_execz .LBB0_605
.LBB0_604:                              ;   in Loop: Header=BB0_504 Depth=2
	v_bfe_u32 v46, v82, 16, 2
	v_bfe_u32 v57, v82, 18, 5
	v_lshlrev_b32_sdwa v58, v43, v82 dst_sel:DWORD dst_unused:UNUSED_PAD src0_sel:DWORD src1_sel:WORD_1
	v_ffbh_u32_e32 v47, v46
	v_cmp_eq_u32_e32 vcc_lo, 0, v57
	v_min_u32_e32 v47, 32, v47
	v_subrev_nc_u32_e32 v56, 29, v47
	v_sub_nc_u32_e32 v47, 30, v47
	v_lshlrev_b32_sdwa v56, v56, v82 dst_sel:DWORD dst_unused:UNUSED_PAD src0_sel:DWORD src1_sel:WORD_1
	v_cndmask_b32_e32 v47, v57, v47, vcc_lo
	v_and_b32_e32 v56, 3, v56
	v_lshl_add_u32 v47, v47, 23, 0x37800000
	v_cndmask_b32_e32 v46, v46, v56, vcc_lo
	v_and_b32_e32 v56, 0x80000000, v58
	v_lshlrev_b32_e32 v46, 21, v46
	v_or3_b32 v46, v56, v47, v46
.LBB0_605:                              ;   in Loop: Header=BB0_504 Depth=2
	s_or_b32 exec_lo, exec_lo, s24
	v_max_f32_e32 v46, v46, v46
	v_max_f32_e32 v81, v81, v81
	;; [unrolled: 1-line block ×3, first 2 shown]
	s_andn2_saveexec_b32 s11, s11
	s_cbranch_execz .LBB0_620
	s_branch .LBB0_607
.LBB0_606:                              ;   in Loop: Header=BB0_504 Depth=2
	s_andn2_saveexec_b32 s11, s11
	s_cbranch_execz .LBB0_620
.LBB0_607:                              ;   in Loop: Header=BB0_504 Depth=2
	v_and_b32_sdwa v46, v17, v42 dst_sel:DWORD dst_unused:UNUSED_PAD src0_sel:WORD_1 src1_sel:DWORD
	s_mov_b32 s23, 0
	s_mov_b32 s24, exec_lo
	v_cmpx_lt_i16_e32 0x7f, v46
	s_xor_b32 s24, exec_lo, s24
	s_cbranch_execz .LBB0_846
; %bb.608:                              ;   in Loop: Header=BB0_504 Depth=2
	s_mov_b32 s23, -1
	s_mov_b32 s25, exec_lo
	v_cmpx_eq_u16_e32 0x80, v46
; %bb.609:                              ;   in Loop: Header=BB0_504 Depth=2
	s_xor_b32 s23, exec_lo, -1
; %bb.610:                              ;   in Loop: Header=BB0_504 Depth=2
	s_or_b32 exec_lo, exec_lo, s25
	s_and_b32 s23, s23, exec_lo
                                        ; implicit-def: $vgpr46
	s_or_saveexec_b32 s24, s24
	v_mov_b32_e32 v81, 0x7f800001
	s_xor_b32 exec_lo, exec_lo, s24
	s_cbranch_execnz .LBB0_847
.LBB0_611:                              ;   in Loop: Header=BB0_504 Depth=2
	s_or_b32 exec_lo, exec_lo, s24
	s_and_saveexec_b32 s24, s23
	s_cbranch_execz .LBB0_613
.LBB0_612:                              ;   in Loop: Header=BB0_504 Depth=2
	v_bfe_u32 v81, v17, 16, 2
	v_bfe_u32 v56, v17, 18, 5
	v_lshlrev_b32_sdwa v57, v43, v17 dst_sel:DWORD dst_unused:UNUSED_PAD src0_sel:DWORD src1_sel:WORD_1
	v_ffbh_u32_e32 v46, v81
	v_cmp_eq_u32_e32 vcc_lo, 0, v56
	v_min_u32_e32 v46, 32, v46
	v_subrev_nc_u32_e32 v47, 29, v46
	v_sub_nc_u32_e32 v46, 30, v46
	v_lshlrev_b32_sdwa v47, v47, v17 dst_sel:DWORD dst_unused:UNUSED_PAD src0_sel:DWORD src1_sel:WORD_1
	v_cndmask_b32_e32 v46, v56, v46, vcc_lo
	v_and_b32_e32 v47, 3, v47
	v_lshl_add_u32 v46, v46, 23, 0x37800000
	v_cndmask_b32_e32 v81, v81, v47, vcc_lo
	v_and_b32_e32 v47, 0x80000000, v57
	v_lshlrev_b32_e32 v81, 21, v81
	v_or3_b32 v81, v47, v46, v81
.LBB0_613:                              ;   in Loop: Header=BB0_504 Depth=2
	s_or_b32 exec_lo, exec_lo, s24
	v_and_b32_sdwa v47, v82, v42 dst_sel:DWORD dst_unused:UNUSED_PAD src0_sel:WORD_1 src1_sel:DWORD
	s_mov_b32 s23, 0
	s_mov_b32 s24, exec_lo
	v_cmpx_lt_i16_e32 0x7f, v47
	s_xor_b32 s24, exec_lo, s24
	s_cbranch_execz .LBB0_848
; %bb.614:                              ;   in Loop: Header=BB0_504 Depth=2
	s_mov_b32 s23, -1
	s_mov_b32 s25, exec_lo
	v_cmpx_eq_u16_e32 0x80, v47
; %bb.615:                              ;   in Loop: Header=BB0_504 Depth=2
	s_xor_b32 s23, exec_lo, -1
; %bb.616:                              ;   in Loop: Header=BB0_504 Depth=2
	s_or_b32 exec_lo, exec_lo, s25
	s_and_b32 s23, s23, exec_lo
                                        ; implicit-def: $vgpr47
	s_or_saveexec_b32 s24, s24
	v_mov_b32_e32 v46, 0x7f800001
	s_xor_b32 exec_lo, exec_lo, s24
	s_cbranch_execnz .LBB0_849
.LBB0_617:                              ;   in Loop: Header=BB0_504 Depth=2
	s_or_b32 exec_lo, exec_lo, s24
	s_and_saveexec_b32 s24, s23
	s_cbranch_execz .LBB0_619
.LBB0_618:                              ;   in Loop: Header=BB0_504 Depth=2
	v_bfe_u32 v46, v82, 16, 2
	v_bfe_u32 v57, v82, 18, 5
	v_lshlrev_b32_sdwa v58, v43, v82 dst_sel:DWORD dst_unused:UNUSED_PAD src0_sel:DWORD src1_sel:WORD_1
	v_ffbh_u32_e32 v47, v46
	v_cmp_eq_u32_e32 vcc_lo, 0, v57
	v_min_u32_e32 v47, 32, v47
	v_subrev_nc_u32_e32 v56, 29, v47
	v_sub_nc_u32_e32 v47, 30, v47
	v_lshlrev_b32_sdwa v56, v56, v82 dst_sel:DWORD dst_unused:UNUSED_PAD src0_sel:DWORD src1_sel:WORD_1
	v_cndmask_b32_e32 v47, v57, v47, vcc_lo
	v_and_b32_e32 v56, 3, v56
	v_lshl_add_u32 v47, v47, 23, 0x37800000
	v_cndmask_b32_e32 v46, v46, v56, vcc_lo
	v_and_b32_e32 v56, 0x80000000, v58
	v_lshlrev_b32_e32 v46, 21, v46
	v_or3_b32 v46, v56, v47, v46
.LBB0_619:                              ;   in Loop: Header=BB0_504 Depth=2
	s_or_b32 exec_lo, exec_lo, s24
	v_max_f32_e32 v46, v46, v46
	v_max_f32_e32 v81, v81, v81
	v_min_f32_e32 v46, v81, v46
.LBB0_620:                              ;   in Loop: Header=BB0_504 Depth=2
	s_or_b32 exec_lo, exec_lo, s11
	v_and_b32_e32 v81, 0x7f800000, v46
	v_cmp_ne_u32_e32 vcc_lo, 0x7f800000, v81
	v_mov_b32_e32 v81, 0x80
	s_and_saveexec_b32 s23, vcc_lo
	s_cbranch_execz .LBB0_628
; %bb.621:                              ;   in Loop: Header=BB0_504 Depth=2
	v_mov_b32_e32 v81, 0
	s_mov_b32 s24, exec_lo
	v_cmpx_ne_u32_e32 0, v46
	s_cbranch_execz .LBB0_627
; %bb.622:                              ;   in Loop: Header=BB0_504 Depth=2
	v_bfe_u32 v81, v46, 23, 8
	v_and_b32_e32 v47, 0x7fffff, v46
	v_sub_nc_u32_e32 v56, 0x70, v81
	v_cmp_gt_u32_e32 vcc_lo, 0x71, v81
	v_or_b32_e32 v57, 0x800000, v47
	v_cndmask_b32_e32 v56, 0, v56, vcc_lo
	v_cmp_eq_u32_e32 vcc_lo, 0, v81
	v_add_nc_u32_e32 v81, 0xffffff91, v81
	v_cndmask_b32_e64 v56, v56, 0x6f, vcc_lo
	v_cndmask_b32_e32 v47, v57, v47, vcc_lo
	v_cndmask_b32_e64 v81, v81, 0xffffff92, vcc_lo
	v_lshl_add_u32 v57, 0x200000, v56, -1
	v_lshrrev_b32_e32 v58, v56, v47
	v_lshlrev_b32_e64 v60, v56, 0x100000
	v_add_nc_u32_e32 v56, v56, v81
	v_and_b32_e32 v47, v57, v47
	v_bfe_u32 v59, v58, 21, 1
	v_cmp_eq_u32_e64 s11, v47, v60
	v_add_nc_u32_e32 v57, -1, v59
	v_cndmask_b32_e64 v47, 0, v57, s11
	v_lshrrev_b32_e32 v57, 23, v58
	s_mov_b32 s11, exec_lo
	v_add_nc_u32_e32 v47, v47, v58
	v_xor_b32_e32 v57, 1, v57
	v_and_b32_e32 v81, 0x1fffff, v47
	v_add_nc_u32_e32 v47, v81, v58
                                        ; implicit-def: $vgpr81
	v_cmpx_ne_u32_e64 v56, v57
	s_xor_b32 s11, exec_lo, s11
; %bb.623:                              ;   in Loop: Header=BB0_504 Depth=2
	v_cmp_lt_u32_e32 vcc_lo, 0xffffff, v47
	v_sub_nc_u32_e32 v81, v56, v57
	v_cndmask_b32_e64 v56, 0, 1, vcc_lo
	v_add_co_ci_u32_e64 v81, null, 0, v81, vcc_lo
	v_lshrrev_b32_e32 v47, v56, v47
; %bb.624:                              ;   in Loop: Header=BB0_504 Depth=2
	s_andn2_saveexec_b32 s11, s11
; %bb.625:                              ;   in Loop: Header=BB0_504 Depth=2
	v_bfe_u32 v81, v47, 23, 1
; %bb.626:                              ;   in Loop: Header=BB0_504 Depth=2
	s_or_b32 exec_lo, exec_lo, s11
	v_lshrrev_b32_e32 v47, 21, v47
	v_min_i32_e32 v56, 31, v81
	v_cmp_gt_i32_e32 vcc_lo, 32, v81
	v_and_b32_sdwa v46, v46, v40 dst_sel:DWORD dst_unused:UNUSED_PAD src0_sel:BYTE_3 src1_sel:DWORD
	v_lshlrev_b32_e32 v56, 2, v56
	v_cndmask_b32_e32 v47, 3, v47, vcc_lo
	v_and_b32_e32 v56, 0xfc, v56
	v_and_b32_e32 v57, 3, v47
	v_or_b32_e32 v81, v81, v47
	v_or3_b32 v46, v56, v46, v57
	v_cmp_ne_u32_e32 vcc_lo, 0, v81
	v_cndmask_b32_e32 v81, 0, v46, vcc_lo
.LBB0_627:                              ;   in Loop: Header=BB0_504 Depth=2
	s_or_b32 exec_lo, exec_lo, s24
.LBB0_628:                              ;   in Loop: Header=BB0_504 Depth=2
	s_or_b32 exec_lo, exec_lo, s23
                                        ; implicit-def: $vgpr46
	s_and_saveexec_b32 s11, s9
	s_xor_b32 s11, exec_lo, s11
	s_cbranch_execz .LBB0_642
; %bb.629:                              ;   in Loop: Header=BB0_504 Depth=2
	v_cmp_gt_i16_sdwa s24, v17, v119 src0_sel:BYTE_3 src1_sel:DWORD
	s_mov_b32 s23, 0
	s_and_saveexec_b32 s25, s24
	s_xor_b32 s24, exec_lo, s25
	s_cbranch_execz .LBB0_850
; %bb.630:                              ;   in Loop: Header=BB0_504 Depth=2
	v_cmp_eq_u16_sdwa s26, v17, v40 src0_sel:BYTE_3 src1_sel:DWORD
	s_mov_b32 s23, -1
	s_and_saveexec_b32 s25, s26
; %bb.631:                              ;   in Loop: Header=BB0_504 Depth=2
	s_xor_b32 s23, exec_lo, -1
; %bb.632:                              ;   in Loop: Header=BB0_504 Depth=2
	s_or_b32 exec_lo, exec_lo, s25
	s_and_b32 s23, s23, exec_lo
	s_or_saveexec_b32 s24, s24
	v_mov_b32_e32 v46, 0x7f800001
	s_xor_b32 exec_lo, exec_lo, s24
	s_cbranch_execnz .LBB0_851
.LBB0_633:                              ;   in Loop: Header=BB0_504 Depth=2
	s_or_b32 exec_lo, exec_lo, s24
	s_and_saveexec_b32 s24, s23
	s_cbranch_execz .LBB0_635
.LBB0_634:                              ;   in Loop: Header=BB0_504 Depth=2
	v_bfe_u32 v46, v17, 24, 2
	v_bfe_u32 v57, v17, 26, 5
	v_ffbh_u32_e32 v47, v46
	v_cmp_eq_u32_e32 vcc_lo, 0, v57
	v_min_u32_e32 v47, 32, v47
	v_subrev_nc_u32_e32 v56, 29, v47
	v_sub_nc_u32_e32 v47, 30, v47
	v_lshlrev_b32_sdwa v56, v56, v17 dst_sel:DWORD dst_unused:UNUSED_PAD src0_sel:DWORD src1_sel:BYTE_3
	v_cndmask_b32_e32 v47, v57, v47, vcc_lo
	v_and_b32_e32 v17, 0x80000000, v17
	v_and_b32_e32 v56, 3, v56
	v_lshl_add_u32 v47, v47, 23, 0x37800000
	v_cndmask_b32_e32 v46, v46, v56, vcc_lo
	v_lshlrev_b32_e32 v46, 21, v46
	v_or3_b32 v46, v17, v47, v46
.LBB0_635:                              ;   in Loop: Header=BB0_504 Depth=2
	s_or_b32 exec_lo, exec_lo, s24
	v_cmp_gt_i16_sdwa s24, v82, v119 src0_sel:BYTE_3 src1_sel:DWORD
	s_mov_b32 s23, 0
	s_and_saveexec_b32 s25, s24
	s_xor_b32 s24, exec_lo, s25
	s_cbranch_execz .LBB0_852
; %bb.636:                              ;   in Loop: Header=BB0_504 Depth=2
	v_cmp_eq_u16_sdwa s26, v82, v40 src0_sel:BYTE_3 src1_sel:DWORD
	s_mov_b32 s23, -1
	s_and_saveexec_b32 s25, s26
; %bb.637:                              ;   in Loop: Header=BB0_504 Depth=2
	s_xor_b32 s23, exec_lo, -1
; %bb.638:                              ;   in Loop: Header=BB0_504 Depth=2
	s_or_b32 exec_lo, exec_lo, s25
	s_and_b32 s23, s23, exec_lo
	s_or_saveexec_b32 s24, s24
	v_mov_b32_e32 v17, 0x7f800001
	s_xor_b32 exec_lo, exec_lo, s24
	s_cbranch_execnz .LBB0_853
.LBB0_639:                              ;   in Loop: Header=BB0_504 Depth=2
	s_or_b32 exec_lo, exec_lo, s24
	s_and_saveexec_b32 s24, s23
	s_cbranch_execz .LBB0_641
.LBB0_640:                              ;   in Loop: Header=BB0_504 Depth=2
	v_bfe_u32 v17, v82, 24, 2
	v_bfe_u32 v57, v82, 26, 5
	v_ffbh_u32_e32 v47, v17
	v_cmp_eq_u32_e32 vcc_lo, 0, v57
	v_min_u32_e32 v47, 32, v47
	v_subrev_nc_u32_e32 v56, 29, v47
	v_sub_nc_u32_e32 v47, 30, v47
	v_lshlrev_b32_sdwa v56, v56, v82 dst_sel:DWORD dst_unused:UNUSED_PAD src0_sel:DWORD src1_sel:BYTE_3
	v_cndmask_b32_e32 v47, v57, v47, vcc_lo
	v_and_b32_e32 v82, 0x80000000, v82
	v_and_b32_e32 v56, 3, v56
	v_lshl_add_u32 v47, v47, 23, 0x37800000
	v_cndmask_b32_e32 v17, v17, v56, vcc_lo
	v_lshlrev_b32_e32 v17, 21, v17
	v_or3_b32 v17, v82, v47, v17
.LBB0_641:                              ;   in Loop: Header=BB0_504 Depth=2
	s_or_b32 exec_lo, exec_lo, s24
	v_max_f32_e32 v17, v17, v17
	v_max_f32_e32 v82, v46, v46
	;; [unrolled: 1-line block ×3, first 2 shown]
                                        ; implicit-def: $vgpr82
	s_andn2_saveexec_b32 s11, s11
	s_cbranch_execz .LBB0_656
	s_branch .LBB0_643
.LBB0_642:                              ;   in Loop: Header=BB0_504 Depth=2
	s_andn2_saveexec_b32 s11, s11
	s_cbranch_execz .LBB0_656
.LBB0_643:                              ;   in Loop: Header=BB0_504 Depth=2
	v_cmp_gt_i16_sdwa s24, v17, v119 src0_sel:BYTE_3 src1_sel:DWORD
	s_mov_b32 s23, 0
	s_and_saveexec_b32 s25, s24
	s_xor_b32 s24, exec_lo, s25
	s_cbranch_execz .LBB0_854
; %bb.644:                              ;   in Loop: Header=BB0_504 Depth=2
	v_cmp_eq_u16_sdwa s26, v17, v40 src0_sel:BYTE_3 src1_sel:DWORD
	s_mov_b32 s23, -1
	s_and_saveexec_b32 s25, s26
; %bb.645:                              ;   in Loop: Header=BB0_504 Depth=2
	s_xor_b32 s23, exec_lo, -1
; %bb.646:                              ;   in Loop: Header=BB0_504 Depth=2
	s_or_b32 exec_lo, exec_lo, s25
	s_and_b32 s23, s23, exec_lo
	s_or_saveexec_b32 s24, s24
	v_mov_b32_e32 v46, 0x7f800001
	s_xor_b32 exec_lo, exec_lo, s24
	s_cbranch_execnz .LBB0_855
.LBB0_647:                              ;   in Loop: Header=BB0_504 Depth=2
	s_or_b32 exec_lo, exec_lo, s24
	s_and_saveexec_b32 s24, s23
	s_cbranch_execz .LBB0_649
.LBB0_648:                              ;   in Loop: Header=BB0_504 Depth=2
	v_bfe_u32 v46, v17, 24, 2
	v_bfe_u32 v57, v17, 26, 5
	v_ffbh_u32_e32 v47, v46
	v_cmp_eq_u32_e32 vcc_lo, 0, v57
	v_min_u32_e32 v47, 32, v47
	v_subrev_nc_u32_e32 v56, 29, v47
	v_sub_nc_u32_e32 v47, 30, v47
	v_lshlrev_b32_sdwa v56, v56, v17 dst_sel:DWORD dst_unused:UNUSED_PAD src0_sel:DWORD src1_sel:BYTE_3
	v_cndmask_b32_e32 v47, v57, v47, vcc_lo
	v_and_b32_e32 v17, 0x80000000, v17
	v_and_b32_e32 v56, 3, v56
	v_lshl_add_u32 v47, v47, 23, 0x37800000
	v_cndmask_b32_e32 v46, v46, v56, vcc_lo
	v_lshlrev_b32_e32 v46, 21, v46
	v_or3_b32 v46, v17, v47, v46
.LBB0_649:                              ;   in Loop: Header=BB0_504 Depth=2
	s_or_b32 exec_lo, exec_lo, s24
	v_cmp_gt_i16_sdwa s24, v82, v119 src0_sel:BYTE_3 src1_sel:DWORD
	s_mov_b32 s23, 0
	s_and_saveexec_b32 s25, s24
	s_xor_b32 s24, exec_lo, s25
	s_cbranch_execz .LBB0_856
; %bb.650:                              ;   in Loop: Header=BB0_504 Depth=2
	v_cmp_eq_u16_sdwa s26, v82, v40 src0_sel:BYTE_3 src1_sel:DWORD
	s_mov_b32 s23, -1
	s_and_saveexec_b32 s25, s26
; %bb.651:                              ;   in Loop: Header=BB0_504 Depth=2
	s_xor_b32 s23, exec_lo, -1
; %bb.652:                              ;   in Loop: Header=BB0_504 Depth=2
	s_or_b32 exec_lo, exec_lo, s25
	s_and_b32 s23, s23, exec_lo
	s_or_saveexec_b32 s24, s24
	v_mov_b32_e32 v17, 0x7f800001
	s_xor_b32 exec_lo, exec_lo, s24
	s_cbranch_execnz .LBB0_857
.LBB0_653:                              ;   in Loop: Header=BB0_504 Depth=2
	s_or_b32 exec_lo, exec_lo, s24
	s_and_saveexec_b32 s24, s23
	s_cbranch_execz .LBB0_655
.LBB0_654:                              ;   in Loop: Header=BB0_504 Depth=2
	v_bfe_u32 v17, v82, 24, 2
	v_bfe_u32 v57, v82, 26, 5
	v_ffbh_u32_e32 v47, v17
	v_cmp_eq_u32_e32 vcc_lo, 0, v57
	v_min_u32_e32 v47, 32, v47
	v_subrev_nc_u32_e32 v56, 29, v47
	v_sub_nc_u32_e32 v47, 30, v47
	v_lshlrev_b32_sdwa v56, v56, v82 dst_sel:DWORD dst_unused:UNUSED_PAD src0_sel:DWORD src1_sel:BYTE_3
	v_cndmask_b32_e32 v47, v57, v47, vcc_lo
	v_and_b32_e32 v82, 0x80000000, v82
	v_and_b32_e32 v56, 3, v56
	v_lshl_add_u32 v47, v47, 23, 0x37800000
	v_cndmask_b32_e32 v17, v17, v56, vcc_lo
	v_lshlrev_b32_e32 v17, 21, v17
	v_or3_b32 v17, v82, v47, v17
.LBB0_655:                              ;   in Loop: Header=BB0_504 Depth=2
	s_or_b32 exec_lo, exec_lo, s24
	v_max_f32_e32 v17, v17, v17
	v_max_f32_e32 v82, v46, v46
	v_min_f32_e32 v46, v82, v17
.LBB0_656:                              ;   in Loop: Header=BB0_504 Depth=2
	s_or_b32 exec_lo, exec_lo, s11
	v_and_b32_e32 v17, 0x7f800000, v46
	v_cmp_ne_u32_e32 vcc_lo, 0x7f800000, v17
	v_mov_b32_e32 v17, 0x8000
	s_and_saveexec_b32 s23, vcc_lo
	s_cbranch_execz .LBB0_664
; %bb.657:                              ;   in Loop: Header=BB0_504 Depth=2
	v_mov_b32_e32 v17, 0
	s_mov_b32 s24, exec_lo
	v_cmpx_ne_u32_e32 0, v46
	s_cbranch_execz .LBB0_663
; %bb.658:                              ;   in Loop: Header=BB0_504 Depth=2
	v_bfe_u32 v17, v46, 23, 8
	v_and_b32_e32 v82, 0x7fffff, v46
	v_sub_nc_u32_e32 v47, 0x70, v17
	v_cmp_gt_u32_e32 vcc_lo, 0x71, v17
	v_or_b32_e32 v56, 0x800000, v82
	v_cndmask_b32_e32 v47, 0, v47, vcc_lo
	v_cmp_eq_u32_e32 vcc_lo, 0, v17
	v_add_nc_u32_e32 v17, 0xffffff91, v17
	v_cndmask_b32_e64 v47, v47, 0x6f, vcc_lo
	v_cndmask_b32_e32 v82, v56, v82, vcc_lo
	v_cndmask_b32_e64 v17, v17, 0xffffff92, vcc_lo
	v_lshl_add_u32 v56, 0x200000, v47, -1
	v_lshrrev_b32_e32 v57, v47, v82
	v_lshlrev_b32_e64 v59, v47, 0x100000
	v_add_nc_u32_e32 v47, v47, v17
	v_and_b32_e32 v82, v56, v82
	v_bfe_u32 v58, v57, 21, 1
	v_cmp_eq_u32_e64 s11, v82, v59
	v_add_nc_u32_e32 v56, -1, v58
	v_cndmask_b32_e64 v82, 0, v56, s11
	v_lshrrev_b32_e32 v56, 23, v57
	s_mov_b32 s11, exec_lo
	v_add_nc_u32_e32 v82, v82, v57
	v_xor_b32_e32 v56, 1, v56
	v_and_b32_e32 v17, 0x1fffff, v82
	v_add_nc_u32_e32 v82, v17, v57
                                        ; implicit-def: $vgpr17
	v_cmpx_ne_u32_e64 v47, v56
	s_xor_b32 s11, exec_lo, s11
; %bb.659:                              ;   in Loop: Header=BB0_504 Depth=2
	v_cmp_lt_u32_e32 vcc_lo, 0xffffff, v82
	v_sub_nc_u32_e32 v17, v47, v56
	v_cndmask_b32_e64 v47, 0, 1, vcc_lo
	v_add_co_ci_u32_e64 v17, null, 0, v17, vcc_lo
	v_lshrrev_b32_e32 v82, v47, v82
; %bb.660:                              ;   in Loop: Header=BB0_504 Depth=2
	s_andn2_saveexec_b32 s11, s11
; %bb.661:                              ;   in Loop: Header=BB0_504 Depth=2
	v_bfe_u32 v17, v82, 23, 1
; %bb.662:                              ;   in Loop: Header=BB0_504 Depth=2
	s_or_b32 exec_lo, exec_lo, s11
	v_lshrrev_b32_e32 v82, 21, v82
	v_min_i32_e32 v47, 31, v17
	v_cmp_gt_i32_e32 vcc_lo, 32, v17
	v_and_b32_sdwa v46, v46, v40 dst_sel:DWORD dst_unused:UNUSED_PAD src0_sel:BYTE_3 src1_sel:DWORD
	v_lshlrev_b32_e32 v47, 2, v47
	v_cndmask_b32_e32 v82, 3, v82, vcc_lo
	v_and_b32_e32 v47, 0xfc, v47
	v_and_b32_e32 v56, 3, v82
	v_or_b32_e32 v17, v17, v82
	v_or3_b32 v46, v46, v47, v56
	v_cmp_ne_u32_e32 vcc_lo, 0, v17
	v_lshlrev_b32_e32 v82, 8, v46
	v_cndmask_b32_e32 v17, 0, v82, vcc_lo
.LBB0_663:                              ;   in Loop: Header=BB0_504 Depth=2
	s_or_b32 exec_lo, exec_lo, s24
.LBB0_664:                              ;   in Loop: Header=BB0_504 Depth=2
	s_or_b32 exec_lo, exec_lo, s23
	v_alignbit_b32 v82, v96, v97, v20
                                        ; implicit-def: $vgpr20
	s_and_saveexec_b32 s11, s9
	s_xor_b32 s11, exec_lo, s11
	s_cbranch_execz .LBB0_678
; %bb.665:                              ;   in Loop: Header=BB0_504 Depth=2
	v_cmp_gt_i16_sdwa s24, v19, v119 src0_sel:BYTE_0 src1_sel:DWORD
	s_mov_b32 s23, 0
	s_and_saveexec_b32 s25, s24
	s_xor_b32 s24, exec_lo, s25
	s_cbranch_execz .LBB0_858
; %bb.666:                              ;   in Loop: Header=BB0_504 Depth=2
	v_cmp_eq_u16_sdwa s26, v19, v40 src0_sel:BYTE_0 src1_sel:DWORD
	s_mov_b32 s23, -1
	s_and_saveexec_b32 s25, s26
; %bb.667:                              ;   in Loop: Header=BB0_504 Depth=2
	s_xor_b32 s23, exec_lo, -1
; %bb.668:                              ;   in Loop: Header=BB0_504 Depth=2
	s_or_b32 exec_lo, exec_lo, s25
	s_and_b32 s23, s23, exec_lo
	s_or_saveexec_b32 s24, s24
	v_mov_b32_e32 v20, 0x7f800001
	s_xor_b32 exec_lo, exec_lo, s24
	s_cbranch_execnz .LBB0_859
.LBB0_669:                              ;   in Loop: Header=BB0_504 Depth=2
	s_or_b32 exec_lo, exec_lo, s24
	s_and_saveexec_b32 s24, s23
	s_cbranch_execz .LBB0_671
.LBB0_670:                              ;   in Loop: Header=BB0_504 Depth=2
	v_and_b32_e32 v20, 3, v19
	v_bfe_u32 v46, v19, 2, 5
	v_lshlrev_b32_e32 v47, 24, v19
	v_ffbh_u32_e32 v96, v20
	v_cmp_eq_u32_e32 vcc_lo, 0, v46
	v_min_u32_e32 v96, 32, v96
	v_subrev_nc_u32_e32 v97, 29, v96
	v_sub_nc_u32_e32 v96, 30, v96
	v_lshlrev_b32_e32 v97, v97, v19
	v_cndmask_b32_e32 v96, v46, v96, vcc_lo
	v_and_b32_e32 v97, 3, v97
	v_lshl_add_u32 v96, v96, 23, 0x37800000
	v_cndmask_b32_e32 v20, v20, v97, vcc_lo
	v_and_b32_e32 v97, 0x80000000, v47
	v_lshlrev_b32_e32 v20, 21, v20
	v_or3_b32 v20, v97, v96, v20
.LBB0_671:                              ;   in Loop: Header=BB0_504 Depth=2
	s_or_b32 exec_lo, exec_lo, s24
	v_cmp_gt_i16_sdwa s24, v82, v119 src0_sel:BYTE_0 src1_sel:DWORD
	s_mov_b32 s23, 0
	s_and_saveexec_b32 s25, s24
	s_xor_b32 s24, exec_lo, s25
	s_cbranch_execz .LBB0_860
; %bb.672:                              ;   in Loop: Header=BB0_504 Depth=2
	v_cmp_eq_u16_sdwa s26, v82, v40 src0_sel:BYTE_0 src1_sel:DWORD
	s_mov_b32 s23, -1
	s_and_saveexec_b32 s25, s26
; %bb.673:                              ;   in Loop: Header=BB0_504 Depth=2
	s_xor_b32 s23, exec_lo, -1
; %bb.674:                              ;   in Loop: Header=BB0_504 Depth=2
	s_or_b32 exec_lo, exec_lo, s25
	s_and_b32 s23, s23, exec_lo
	s_or_saveexec_b32 s24, s24
	v_mov_b32_e32 v96, 0x7f800001
	s_xor_b32 exec_lo, exec_lo, s24
	s_cbranch_execnz .LBB0_861
.LBB0_675:                              ;   in Loop: Header=BB0_504 Depth=2
	s_or_b32 exec_lo, exec_lo, s24
	s_and_saveexec_b32 s24, s23
	s_cbranch_execz .LBB0_677
.LBB0_676:                              ;   in Loop: Header=BB0_504 Depth=2
	v_and_b32_e32 v96, 3, v82
	v_bfe_u32 v47, v82, 2, 5
	v_lshlrev_b32_e32 v56, 24, v82
	v_ffbh_u32_e32 v97, v96
	v_cmp_eq_u32_e32 vcc_lo, 0, v47
	v_min_u32_e32 v97, 32, v97
	v_subrev_nc_u32_e32 v46, 29, v97
	v_sub_nc_u32_e32 v97, 30, v97
	v_lshlrev_b32_e32 v46, v46, v82
	v_cndmask_b32_e32 v97, v47, v97, vcc_lo
	v_and_b32_e32 v46, 3, v46
	v_lshl_add_u32 v97, v97, 23, 0x37800000
	v_cndmask_b32_e32 v96, v96, v46, vcc_lo
	v_and_b32_e32 v46, 0x80000000, v56
	v_lshlrev_b32_e32 v96, 21, v96
	v_or3_b32 v96, v46, v97, v96
.LBB0_677:                              ;   in Loop: Header=BB0_504 Depth=2
	s_or_b32 exec_lo, exec_lo, s24
	v_max_f32_e32 v96, v96, v96
	v_max_f32_e32 v20, v20, v20
	;; [unrolled: 1-line block ×3, first 2 shown]
.LBB0_678:                              ;   in Loop: Header=BB0_504 Depth=2
	s_andn2_saveexec_b32 s11, s11
	s_cbranch_execz .LBB0_692
; %bb.679:                              ;   in Loop: Header=BB0_504 Depth=2
	v_cmp_gt_i16_sdwa s24, v19, v119 src0_sel:BYTE_0 src1_sel:DWORD
	s_mov_b32 s23, 0
	s_and_saveexec_b32 s25, s24
	s_xor_b32 s24, exec_lo, s25
	s_cbranch_execz .LBB0_862
; %bb.680:                              ;   in Loop: Header=BB0_504 Depth=2
	v_cmp_eq_u16_sdwa s26, v19, v40 src0_sel:BYTE_0 src1_sel:DWORD
	s_mov_b32 s23, -1
	s_and_saveexec_b32 s25, s26
; %bb.681:                              ;   in Loop: Header=BB0_504 Depth=2
	s_xor_b32 s23, exec_lo, -1
; %bb.682:                              ;   in Loop: Header=BB0_504 Depth=2
	s_or_b32 exec_lo, exec_lo, s25
	s_and_b32 s23, s23, exec_lo
	s_or_saveexec_b32 s24, s24
	v_mov_b32_e32 v20, 0x7f800001
	s_xor_b32 exec_lo, exec_lo, s24
	s_cbranch_execnz .LBB0_863
.LBB0_683:                              ;   in Loop: Header=BB0_504 Depth=2
	s_or_b32 exec_lo, exec_lo, s24
	s_and_saveexec_b32 s24, s23
	s_cbranch_execz .LBB0_685
.LBB0_684:                              ;   in Loop: Header=BB0_504 Depth=2
	v_and_b32_e32 v20, 3, v19
	v_bfe_u32 v46, v19, 2, 5
	v_lshlrev_b32_e32 v47, 24, v19
	v_ffbh_u32_e32 v96, v20
	v_cmp_eq_u32_e32 vcc_lo, 0, v46
	v_min_u32_e32 v96, 32, v96
	v_subrev_nc_u32_e32 v97, 29, v96
	v_sub_nc_u32_e32 v96, 30, v96
	v_lshlrev_b32_e32 v97, v97, v19
	v_cndmask_b32_e32 v96, v46, v96, vcc_lo
	v_and_b32_e32 v97, 3, v97
	v_lshl_add_u32 v96, v96, 23, 0x37800000
	v_cndmask_b32_e32 v20, v20, v97, vcc_lo
	v_and_b32_e32 v97, 0x80000000, v47
	v_lshlrev_b32_e32 v20, 21, v20
	v_or3_b32 v20, v97, v96, v20
.LBB0_685:                              ;   in Loop: Header=BB0_504 Depth=2
	s_or_b32 exec_lo, exec_lo, s24
	v_cmp_gt_i16_sdwa s24, v82, v119 src0_sel:BYTE_0 src1_sel:DWORD
	s_mov_b32 s23, 0
	s_and_saveexec_b32 s25, s24
	s_xor_b32 s24, exec_lo, s25
	s_cbranch_execz .LBB0_864
; %bb.686:                              ;   in Loop: Header=BB0_504 Depth=2
	v_cmp_eq_u16_sdwa s26, v82, v40 src0_sel:BYTE_0 src1_sel:DWORD
	s_mov_b32 s23, -1
	s_and_saveexec_b32 s25, s26
; %bb.687:                              ;   in Loop: Header=BB0_504 Depth=2
	s_xor_b32 s23, exec_lo, -1
; %bb.688:                              ;   in Loop: Header=BB0_504 Depth=2
	s_or_b32 exec_lo, exec_lo, s25
	s_and_b32 s23, s23, exec_lo
	s_or_saveexec_b32 s24, s24
	v_mov_b32_e32 v96, 0x7f800001
	s_xor_b32 exec_lo, exec_lo, s24
	s_cbranch_execnz .LBB0_865
.LBB0_689:                              ;   in Loop: Header=BB0_504 Depth=2
	s_or_b32 exec_lo, exec_lo, s24
	s_and_saveexec_b32 s24, s23
	s_cbranch_execz .LBB0_691
.LBB0_690:                              ;   in Loop: Header=BB0_504 Depth=2
	v_and_b32_e32 v96, 3, v82
	v_bfe_u32 v47, v82, 2, 5
	v_lshlrev_b32_e32 v56, 24, v82
	v_ffbh_u32_e32 v97, v96
	v_cmp_eq_u32_e32 vcc_lo, 0, v47
	v_min_u32_e32 v97, 32, v97
	v_subrev_nc_u32_e32 v46, 29, v97
	v_sub_nc_u32_e32 v97, 30, v97
	v_lshlrev_b32_e32 v46, v46, v82
	v_cndmask_b32_e32 v97, v47, v97, vcc_lo
	v_and_b32_e32 v46, 3, v46
	v_lshl_add_u32 v97, v97, 23, 0x37800000
	v_cndmask_b32_e32 v96, v96, v46, vcc_lo
	v_and_b32_e32 v46, 0x80000000, v56
	v_lshlrev_b32_e32 v96, 21, v96
	v_or3_b32 v96, v46, v97, v96
.LBB0_691:                              ;   in Loop: Header=BB0_504 Depth=2
	s_or_b32 exec_lo, exec_lo, s24
	v_max_f32_e32 v96, v96, v96
	v_max_f32_e32 v20, v20, v20
	v_min_f32_e32 v20, v20, v96
.LBB0_692:                              ;   in Loop: Header=BB0_504 Depth=2
	s_or_b32 exec_lo, exec_lo, s11
	v_and_b32_e32 v96, 0x7f800000, v20
	v_cmp_ne_u32_e32 vcc_lo, 0x7f800000, v96
	v_mov_b32_e32 v96, 0x80
	s_and_saveexec_b32 s23, vcc_lo
	s_cbranch_execz .LBB0_700
; %bb.693:                              ;   in Loop: Header=BB0_504 Depth=2
	v_mov_b32_e32 v96, 0
	s_mov_b32 s24, exec_lo
	v_cmpx_ne_u32_e32 0, v20
	s_cbranch_execz .LBB0_699
; %bb.694:                              ;   in Loop: Header=BB0_504 Depth=2
	v_bfe_u32 v96, v20, 23, 8
	v_and_b32_e32 v97, 0x7fffff, v20
	v_sub_nc_u32_e32 v46, 0x70, v96
	v_cmp_gt_u32_e32 vcc_lo, 0x71, v96
	v_or_b32_e32 v47, 0x800000, v97
	v_cndmask_b32_e32 v46, 0, v46, vcc_lo
	v_cmp_eq_u32_e32 vcc_lo, 0, v96
	v_add_nc_u32_e32 v96, 0xffffff91, v96
	v_cndmask_b32_e64 v46, v46, 0x6f, vcc_lo
	v_cndmask_b32_e32 v97, v47, v97, vcc_lo
	v_cndmask_b32_e64 v96, v96, 0xffffff92, vcc_lo
	v_lshl_add_u32 v47, 0x200000, v46, -1
	v_lshrrev_b32_e32 v56, v46, v97
	v_lshlrev_b32_e64 v58, v46, 0x100000
	v_add_nc_u32_e32 v46, v46, v96
	v_and_b32_e32 v97, v47, v97
	v_bfe_u32 v57, v56, 21, 1
	v_cmp_eq_u32_e64 s11, v97, v58
	v_add_nc_u32_e32 v47, -1, v57
	v_cndmask_b32_e64 v97, 0, v47, s11
	v_lshrrev_b32_e32 v47, 23, v56
	s_mov_b32 s11, exec_lo
	v_add_nc_u32_e32 v97, v97, v56
	v_xor_b32_e32 v47, 1, v47
	v_and_b32_e32 v96, 0x1fffff, v97
	v_add_nc_u32_e32 v97, v96, v56
                                        ; implicit-def: $vgpr96
	v_cmpx_ne_u32_e64 v46, v47
	s_xor_b32 s11, exec_lo, s11
; %bb.695:                              ;   in Loop: Header=BB0_504 Depth=2
	v_cmp_lt_u32_e32 vcc_lo, 0xffffff, v97
	v_sub_nc_u32_e32 v96, v46, v47
	v_cndmask_b32_e64 v46, 0, 1, vcc_lo
	v_add_co_ci_u32_e64 v96, null, 0, v96, vcc_lo
	v_lshrrev_b32_e32 v97, v46, v97
; %bb.696:                              ;   in Loop: Header=BB0_504 Depth=2
	s_andn2_saveexec_b32 s11, s11
; %bb.697:                              ;   in Loop: Header=BB0_504 Depth=2
	v_bfe_u32 v96, v97, 23, 1
; %bb.698:                              ;   in Loop: Header=BB0_504 Depth=2
	s_or_b32 exec_lo, exec_lo, s11
	v_lshrrev_b32_e32 v97, 21, v97
	v_min_i32_e32 v46, 31, v96
	v_cmp_gt_i32_e32 vcc_lo, 32, v96
	v_and_b32_sdwa v20, v20, v40 dst_sel:DWORD dst_unused:UNUSED_PAD src0_sel:BYTE_3 src1_sel:DWORD
	v_lshlrev_b32_e32 v46, 2, v46
	v_cndmask_b32_e32 v97, 3, v97, vcc_lo
	v_and_b32_e32 v46, 0xfc, v46
	v_and_b32_e32 v47, 3, v97
	v_or_b32_e32 v96, v96, v97
	v_or3_b32 v20, v46, v20, v47
	v_cmp_ne_u32_e32 vcc_lo, 0, v96
	v_cndmask_b32_e32 v96, 0, v20, vcc_lo
.LBB0_699:                              ;   in Loop: Header=BB0_504 Depth=2
	s_or_b32 exec_lo, exec_lo, s24
.LBB0_700:                              ;   in Loop: Header=BB0_504 Depth=2
	s_or_b32 exec_lo, exec_lo, s23
                                        ; implicit-def: $vgpr20
	s_and_saveexec_b32 s11, s9
	s_xor_b32 s11, exec_lo, s11
	s_cbranch_execz .LBB0_714
; %bb.701:                              ;   in Loop: Header=BB0_504 Depth=2
	v_cmp_gt_i16_sdwa s24, v19, v119 src0_sel:BYTE_1 src1_sel:DWORD
	s_mov_b32 s23, 0
	s_and_saveexec_b32 s25, s24
	s_xor_b32 s24, exec_lo, s25
	s_cbranch_execz .LBB0_866
; %bb.702:                              ;   in Loop: Header=BB0_504 Depth=2
	v_cmp_eq_u16_sdwa s26, v19, v40 src0_sel:BYTE_1 src1_sel:DWORD
	s_mov_b32 s23, -1
	s_and_saveexec_b32 s25, s26
; %bb.703:                              ;   in Loop: Header=BB0_504 Depth=2
	s_xor_b32 s23, exec_lo, -1
; %bb.704:                              ;   in Loop: Header=BB0_504 Depth=2
	s_or_b32 exec_lo, exec_lo, s25
	s_and_b32 s23, s23, exec_lo
	s_or_saveexec_b32 s24, s24
	v_mov_b32_e32 v20, 0x7f800001
	s_xor_b32 exec_lo, exec_lo, s24
	s_cbranch_execnz .LBB0_867
.LBB0_705:                              ;   in Loop: Header=BB0_504 Depth=2
	s_or_b32 exec_lo, exec_lo, s24
	s_and_saveexec_b32 s24, s23
	s_cbranch_execz .LBB0_707
.LBB0_706:                              ;   in Loop: Header=BB0_504 Depth=2
	v_and_b32_sdwa v20, v41, v19 dst_sel:DWORD dst_unused:UNUSED_PAD src0_sel:DWORD src1_sel:BYTE_1
	v_and_b32_e32 v97, 3, v20
	v_bfe_u32 v56, v20, 2, 5
	v_ffbh_u32_e32 v46, v97
	v_cmp_eq_u32_e32 vcc_lo, 0, v56
	v_min_u32_e32 v46, 32, v46
	v_subrev_nc_u32_e32 v47, 29, v46
	v_sub_nc_u32_e32 v46, 30, v46
	v_lshlrev_b32_e32 v20, v47, v20
	v_lshlrev_b32_e32 v47, 16, v19
	v_cndmask_b32_e32 v46, v56, v46, vcc_lo
	v_and_b32_e32 v20, 3, v20
	v_lshl_add_u32 v46, v46, 23, 0x37800000
	v_cndmask_b32_e32 v20, v97, v20, vcc_lo
	v_and_b32_e32 v97, 0x80000000, v47
	v_lshlrev_b32_e32 v20, 21, v20
	v_or3_b32 v20, v97, v46, v20
.LBB0_707:                              ;   in Loop: Header=BB0_504 Depth=2
	s_or_b32 exec_lo, exec_lo, s24
	v_cmp_gt_i16_sdwa s24, v82, v119 src0_sel:BYTE_1 src1_sel:DWORD
	s_mov_b32 s23, 0
	s_and_saveexec_b32 s25, s24
	s_xor_b32 s24, exec_lo, s25
	s_cbranch_execz .LBB0_868
; %bb.708:                              ;   in Loop: Header=BB0_504 Depth=2
	v_cmp_eq_u16_sdwa s26, v82, v40 src0_sel:BYTE_1 src1_sel:DWORD
	s_mov_b32 s23, -1
	s_and_saveexec_b32 s25, s26
; %bb.709:                              ;   in Loop: Header=BB0_504 Depth=2
	s_xor_b32 s23, exec_lo, -1
; %bb.710:                              ;   in Loop: Header=BB0_504 Depth=2
	s_or_b32 exec_lo, exec_lo, s25
	s_and_b32 s23, s23, exec_lo
	s_or_saveexec_b32 s24, s24
	v_mov_b32_e32 v97, 0x7f800001
	s_xor_b32 exec_lo, exec_lo, s24
	s_cbranch_execnz .LBB0_869
.LBB0_711:                              ;   in Loop: Header=BB0_504 Depth=2
	s_or_b32 exec_lo, exec_lo, s24
	s_and_saveexec_b32 s24, s23
	s_cbranch_execz .LBB0_713
.LBB0_712:                              ;   in Loop: Header=BB0_504 Depth=2
	v_and_b32_sdwa v97, v41, v82 dst_sel:DWORD dst_unused:UNUSED_PAD src0_sel:DWORD src1_sel:BYTE_1
	v_and_b32_e32 v46, 3, v97
	v_bfe_u32 v57, v97, 2, 5
	v_ffbh_u32_e32 v47, v46
	v_cmp_eq_u32_e32 vcc_lo, 0, v57
	v_min_u32_e32 v47, 32, v47
	v_subrev_nc_u32_e32 v56, 29, v47
	v_sub_nc_u32_e32 v47, 30, v47
	v_lshlrev_b32_e32 v97, v56, v97
	v_lshlrev_b32_e32 v56, 16, v82
	v_cndmask_b32_e32 v47, v57, v47, vcc_lo
	v_and_b32_e32 v97, 3, v97
	v_lshl_add_u32 v47, v47, 23, 0x37800000
	v_cndmask_b32_e32 v97, v46, v97, vcc_lo
	v_and_b32_e32 v46, 0x80000000, v56
	v_lshlrev_b32_e32 v97, 21, v97
	v_or3_b32 v97, v46, v47, v97
.LBB0_713:                              ;   in Loop: Header=BB0_504 Depth=2
	s_or_b32 exec_lo, exec_lo, s24
	v_max_f32_e32 v97, v97, v97
	v_max_f32_e32 v20, v20, v20
	;; [unrolled: 1-line block ×3, first 2 shown]
	s_andn2_saveexec_b32 s11, s11
	s_cbranch_execz .LBB0_728
	s_branch .LBB0_715
.LBB0_714:                              ;   in Loop: Header=BB0_504 Depth=2
	s_andn2_saveexec_b32 s11, s11
	s_cbranch_execz .LBB0_728
.LBB0_715:                              ;   in Loop: Header=BB0_504 Depth=2
	v_cmp_gt_i16_sdwa s24, v19, v119 src0_sel:BYTE_1 src1_sel:DWORD
	s_mov_b32 s23, 0
	s_and_saveexec_b32 s25, s24
	s_xor_b32 s24, exec_lo, s25
	s_cbranch_execz .LBB0_870
; %bb.716:                              ;   in Loop: Header=BB0_504 Depth=2
	v_cmp_eq_u16_sdwa s26, v19, v40 src0_sel:BYTE_1 src1_sel:DWORD
	s_mov_b32 s23, -1
	s_and_saveexec_b32 s25, s26
; %bb.717:                              ;   in Loop: Header=BB0_504 Depth=2
	s_xor_b32 s23, exec_lo, -1
; %bb.718:                              ;   in Loop: Header=BB0_504 Depth=2
	s_or_b32 exec_lo, exec_lo, s25
	s_and_b32 s23, s23, exec_lo
	s_or_saveexec_b32 s24, s24
	v_mov_b32_e32 v20, 0x7f800001
	s_xor_b32 exec_lo, exec_lo, s24
	s_cbranch_execnz .LBB0_871
.LBB0_719:                              ;   in Loop: Header=BB0_504 Depth=2
	s_or_b32 exec_lo, exec_lo, s24
	s_and_saveexec_b32 s24, s23
	s_cbranch_execz .LBB0_721
.LBB0_720:                              ;   in Loop: Header=BB0_504 Depth=2
	v_and_b32_sdwa v20, v41, v19 dst_sel:DWORD dst_unused:UNUSED_PAD src0_sel:DWORD src1_sel:BYTE_1
	v_and_b32_e32 v97, 3, v20
	v_bfe_u32 v56, v20, 2, 5
	v_ffbh_u32_e32 v46, v97
	v_cmp_eq_u32_e32 vcc_lo, 0, v56
	v_min_u32_e32 v46, 32, v46
	v_subrev_nc_u32_e32 v47, 29, v46
	v_sub_nc_u32_e32 v46, 30, v46
	v_lshlrev_b32_e32 v20, v47, v20
	v_lshlrev_b32_e32 v47, 16, v19
	v_cndmask_b32_e32 v46, v56, v46, vcc_lo
	v_and_b32_e32 v20, 3, v20
	v_lshl_add_u32 v46, v46, 23, 0x37800000
	v_cndmask_b32_e32 v20, v97, v20, vcc_lo
	v_and_b32_e32 v97, 0x80000000, v47
	v_lshlrev_b32_e32 v20, 21, v20
	v_or3_b32 v20, v97, v46, v20
.LBB0_721:                              ;   in Loop: Header=BB0_504 Depth=2
	s_or_b32 exec_lo, exec_lo, s24
	v_cmp_gt_i16_sdwa s24, v82, v119 src0_sel:BYTE_1 src1_sel:DWORD
	s_mov_b32 s23, 0
	s_and_saveexec_b32 s25, s24
	s_xor_b32 s24, exec_lo, s25
	s_cbranch_execz .LBB0_872
; %bb.722:                              ;   in Loop: Header=BB0_504 Depth=2
	v_cmp_eq_u16_sdwa s26, v82, v40 src0_sel:BYTE_1 src1_sel:DWORD
	s_mov_b32 s23, -1
	s_and_saveexec_b32 s25, s26
; %bb.723:                              ;   in Loop: Header=BB0_504 Depth=2
	s_xor_b32 s23, exec_lo, -1
; %bb.724:                              ;   in Loop: Header=BB0_504 Depth=2
	s_or_b32 exec_lo, exec_lo, s25
	s_and_b32 s23, s23, exec_lo
	s_or_saveexec_b32 s24, s24
	v_mov_b32_e32 v97, 0x7f800001
	s_xor_b32 exec_lo, exec_lo, s24
	s_cbranch_execnz .LBB0_873
.LBB0_725:                              ;   in Loop: Header=BB0_504 Depth=2
	s_or_b32 exec_lo, exec_lo, s24
	s_and_saveexec_b32 s24, s23
	s_cbranch_execz .LBB0_727
.LBB0_726:                              ;   in Loop: Header=BB0_504 Depth=2
	v_and_b32_sdwa v97, v41, v82 dst_sel:DWORD dst_unused:UNUSED_PAD src0_sel:DWORD src1_sel:BYTE_1
	v_and_b32_e32 v46, 3, v97
	v_bfe_u32 v57, v97, 2, 5
	v_ffbh_u32_e32 v47, v46
	v_cmp_eq_u32_e32 vcc_lo, 0, v57
	v_min_u32_e32 v47, 32, v47
	v_subrev_nc_u32_e32 v56, 29, v47
	v_sub_nc_u32_e32 v47, 30, v47
	v_lshlrev_b32_e32 v97, v56, v97
	v_lshlrev_b32_e32 v56, 16, v82
	v_cndmask_b32_e32 v47, v57, v47, vcc_lo
	v_and_b32_e32 v97, 3, v97
	v_lshl_add_u32 v47, v47, 23, 0x37800000
	v_cndmask_b32_e32 v97, v46, v97, vcc_lo
	v_and_b32_e32 v46, 0x80000000, v56
	v_lshlrev_b32_e32 v97, 21, v97
	v_or3_b32 v97, v46, v47, v97
.LBB0_727:                              ;   in Loop: Header=BB0_504 Depth=2
	s_or_b32 exec_lo, exec_lo, s24
	v_max_f32_e32 v97, v97, v97
	v_max_f32_e32 v20, v20, v20
	v_min_f32_e32 v20, v20, v97
.LBB0_728:                              ;   in Loop: Header=BB0_504 Depth=2
	s_or_b32 exec_lo, exec_lo, s11
	v_and_b32_e32 v97, 0x7f800000, v20
	v_cmp_ne_u32_e32 vcc_lo, 0x7f800000, v97
	v_mov_b32_e32 v97, 0x8000
	s_and_saveexec_b32 s23, vcc_lo
	s_cbranch_execz .LBB0_736
; %bb.729:                              ;   in Loop: Header=BB0_504 Depth=2
	v_mov_b32_e32 v97, 0
	s_mov_b32 s24, exec_lo
	v_cmpx_ne_u32_e32 0, v20
	s_cbranch_execz .LBB0_735
; %bb.730:                              ;   in Loop: Header=BB0_504 Depth=2
	v_bfe_u32 v97, v20, 23, 8
	v_and_b32_e32 v46, 0x7fffff, v20
	v_sub_nc_u32_e32 v47, 0x70, v97
	v_cmp_gt_u32_e32 vcc_lo, 0x71, v97
	v_or_b32_e32 v56, 0x800000, v46
	v_cndmask_b32_e32 v47, 0, v47, vcc_lo
	v_cmp_eq_u32_e32 vcc_lo, 0, v97
	v_add_nc_u32_e32 v97, 0xffffff91, v97
	v_cndmask_b32_e64 v47, v47, 0x6f, vcc_lo
	v_cndmask_b32_e32 v46, v56, v46, vcc_lo
	v_cndmask_b32_e64 v97, v97, 0xffffff92, vcc_lo
	v_lshl_add_u32 v56, 0x200000, v47, -1
	v_lshrrev_b32_e32 v57, v47, v46
	v_lshlrev_b32_e64 v59, v47, 0x100000
	v_add_nc_u32_e32 v47, v47, v97
	v_and_b32_e32 v46, v56, v46
	v_bfe_u32 v58, v57, 21, 1
	v_cmp_eq_u32_e64 s11, v46, v59
	v_add_nc_u32_e32 v56, -1, v58
	v_cndmask_b32_e64 v46, 0, v56, s11
	v_lshrrev_b32_e32 v56, 23, v57
	s_mov_b32 s11, exec_lo
	v_add_nc_u32_e32 v46, v46, v57
	v_xor_b32_e32 v56, 1, v56
	v_and_b32_e32 v97, 0x1fffff, v46
	v_add_nc_u32_e32 v46, v97, v57
                                        ; implicit-def: $vgpr97
	v_cmpx_ne_u32_e64 v47, v56
	s_xor_b32 s11, exec_lo, s11
; %bb.731:                              ;   in Loop: Header=BB0_504 Depth=2
	v_cmp_lt_u32_e32 vcc_lo, 0xffffff, v46
	v_sub_nc_u32_e32 v97, v47, v56
	v_cndmask_b32_e64 v47, 0, 1, vcc_lo
	v_add_co_ci_u32_e64 v97, null, 0, v97, vcc_lo
	v_lshrrev_b32_e32 v46, v47, v46
; %bb.732:                              ;   in Loop: Header=BB0_504 Depth=2
	s_andn2_saveexec_b32 s11, s11
; %bb.733:                              ;   in Loop: Header=BB0_504 Depth=2
	v_bfe_u32 v97, v46, 23, 1
; %bb.734:                              ;   in Loop: Header=BB0_504 Depth=2
	s_or_b32 exec_lo, exec_lo, s11
	v_lshrrev_b32_e32 v46, 21, v46
	v_min_i32_e32 v47, 31, v97
	v_cmp_gt_i32_e32 vcc_lo, 32, v97
	v_and_b32_sdwa v20, v20, v40 dst_sel:DWORD dst_unused:UNUSED_PAD src0_sel:BYTE_3 src1_sel:DWORD
	v_lshlrev_b32_e32 v47, 2, v47
	v_cndmask_b32_e32 v46, 3, v46, vcc_lo
	v_and_b32_e32 v47, 0xfc, v47
	v_and_b32_e32 v56, 3, v46
	v_or_b32_e32 v97, v97, v46
	v_or3_b32 v20, v20, v47, v56
	v_cmp_ne_u32_e32 vcc_lo, 0, v97
	v_lshlrev_b32_e32 v20, 8, v20
	v_cndmask_b32_e32 v97, 0, v20, vcc_lo
.LBB0_735:                              ;   in Loop: Header=BB0_504 Depth=2
	s_or_b32 exec_lo, exec_lo, s24
.LBB0_736:                              ;   in Loop: Header=BB0_504 Depth=2
	s_or_b32 exec_lo, exec_lo, s23
                                        ; implicit-def: $vgpr20
	s_and_saveexec_b32 s11, s9
	s_xor_b32 s11, exec_lo, s11
	s_cbranch_execz .LBB0_750
; %bb.737:                              ;   in Loop: Header=BB0_504 Depth=2
	v_and_b32_sdwa v46, v19, v42 dst_sel:DWORD dst_unused:UNUSED_PAD src0_sel:WORD_1 src1_sel:DWORD
	s_mov_b32 s23, 0
	s_mov_b32 s24, exec_lo
	v_cmpx_lt_i16_e32 0x7f, v46
	s_xor_b32 s24, exec_lo, s24
	s_cbranch_execz .LBB0_874
; %bb.738:                              ;   in Loop: Header=BB0_504 Depth=2
	s_mov_b32 s23, -1
	s_mov_b32 s25, exec_lo
	v_cmpx_eq_u16_e32 0x80, v46
; %bb.739:                              ;   in Loop: Header=BB0_504 Depth=2
	s_xor_b32 s23, exec_lo, -1
; %bb.740:                              ;   in Loop: Header=BB0_504 Depth=2
	s_or_b32 exec_lo, exec_lo, s25
	s_and_b32 s23, s23, exec_lo
                                        ; implicit-def: $vgpr46
	s_or_saveexec_b32 s24, s24
	v_mov_b32_e32 v20, 0x7f800001
	s_xor_b32 exec_lo, exec_lo, s24
	s_cbranch_execnz .LBB0_875
.LBB0_741:                              ;   in Loop: Header=BB0_504 Depth=2
	s_or_b32 exec_lo, exec_lo, s24
	s_and_saveexec_b32 s24, s23
	s_cbranch_execz .LBB0_743
.LBB0_742:                              ;   in Loop: Header=BB0_504 Depth=2
	v_bfe_u32 v20, v19, 16, 2
	v_bfe_u32 v56, v19, 18, 5
	v_lshlrev_b32_sdwa v57, v43, v19 dst_sel:DWORD dst_unused:UNUSED_PAD src0_sel:DWORD src1_sel:WORD_1
	v_ffbh_u32_e32 v46, v20
	v_cmp_eq_u32_e32 vcc_lo, 0, v56
	v_min_u32_e32 v46, 32, v46
	v_subrev_nc_u32_e32 v47, 29, v46
	v_sub_nc_u32_e32 v46, 30, v46
	v_lshlrev_b32_sdwa v47, v47, v19 dst_sel:DWORD dst_unused:UNUSED_PAD src0_sel:DWORD src1_sel:WORD_1
	v_cndmask_b32_e32 v46, v56, v46, vcc_lo
	v_and_b32_e32 v47, 3, v47
	v_lshl_add_u32 v46, v46, 23, 0x37800000
	v_cndmask_b32_e32 v20, v20, v47, vcc_lo
	v_and_b32_e32 v47, 0x80000000, v57
	v_lshlrev_b32_e32 v20, 21, v20
	v_or3_b32 v20, v47, v46, v20
.LBB0_743:                              ;   in Loop: Header=BB0_504 Depth=2
	s_or_b32 exec_lo, exec_lo, s24
	v_and_b32_sdwa v47, v82, v42 dst_sel:DWORD dst_unused:UNUSED_PAD src0_sel:WORD_1 src1_sel:DWORD
	s_mov_b32 s23, 0
	s_mov_b32 s24, exec_lo
	v_cmpx_lt_i16_e32 0x7f, v47
	s_xor_b32 s24, exec_lo, s24
	s_cbranch_execz .LBB0_876
; %bb.744:                              ;   in Loop: Header=BB0_504 Depth=2
	s_mov_b32 s23, -1
	s_mov_b32 s25, exec_lo
	v_cmpx_eq_u16_e32 0x80, v47
; %bb.745:                              ;   in Loop: Header=BB0_504 Depth=2
	s_xor_b32 s23, exec_lo, -1
; %bb.746:                              ;   in Loop: Header=BB0_504 Depth=2
	s_or_b32 exec_lo, exec_lo, s25
	s_and_b32 s23, s23, exec_lo
                                        ; implicit-def: $vgpr47
	s_or_saveexec_b32 s24, s24
	v_mov_b32_e32 v46, 0x7f800001
	s_xor_b32 exec_lo, exec_lo, s24
	s_cbranch_execnz .LBB0_877
.LBB0_747:                              ;   in Loop: Header=BB0_504 Depth=2
	s_or_b32 exec_lo, exec_lo, s24
	s_and_saveexec_b32 s24, s23
	s_cbranch_execz .LBB0_749
.LBB0_748:                              ;   in Loop: Header=BB0_504 Depth=2
	v_bfe_u32 v46, v82, 16, 2
	v_bfe_u32 v57, v82, 18, 5
	v_lshlrev_b32_sdwa v58, v43, v82 dst_sel:DWORD dst_unused:UNUSED_PAD src0_sel:DWORD src1_sel:WORD_1
	v_ffbh_u32_e32 v47, v46
	v_cmp_eq_u32_e32 vcc_lo, 0, v57
	v_min_u32_e32 v47, 32, v47
	v_subrev_nc_u32_e32 v56, 29, v47
	v_sub_nc_u32_e32 v47, 30, v47
	v_lshlrev_b32_sdwa v56, v56, v82 dst_sel:DWORD dst_unused:UNUSED_PAD src0_sel:DWORD src1_sel:WORD_1
	v_cndmask_b32_e32 v47, v57, v47, vcc_lo
	v_and_b32_e32 v56, 3, v56
	v_lshl_add_u32 v47, v47, 23, 0x37800000
	v_cndmask_b32_e32 v46, v46, v56, vcc_lo
	v_and_b32_e32 v56, 0x80000000, v58
	v_lshlrev_b32_e32 v46, 21, v46
	v_or3_b32 v46, v56, v47, v46
.LBB0_749:                              ;   in Loop: Header=BB0_504 Depth=2
	s_or_b32 exec_lo, exec_lo, s24
	v_max_f32_e32 v46, v46, v46
	v_max_f32_e32 v20, v20, v20
	;; [unrolled: 1-line block ×3, first 2 shown]
	s_andn2_saveexec_b32 s11, s11
	s_cbranch_execz .LBB0_764
	s_branch .LBB0_751
.LBB0_750:                              ;   in Loop: Header=BB0_504 Depth=2
	s_andn2_saveexec_b32 s11, s11
	s_cbranch_execz .LBB0_764
.LBB0_751:                              ;   in Loop: Header=BB0_504 Depth=2
	v_and_b32_sdwa v46, v19, v42 dst_sel:DWORD dst_unused:UNUSED_PAD src0_sel:WORD_1 src1_sel:DWORD
	s_mov_b32 s23, 0
	s_mov_b32 s24, exec_lo
	v_cmpx_lt_i16_e32 0x7f, v46
	s_xor_b32 s24, exec_lo, s24
	s_cbranch_execz .LBB0_878
; %bb.752:                              ;   in Loop: Header=BB0_504 Depth=2
	s_mov_b32 s23, -1
	s_mov_b32 s25, exec_lo
	v_cmpx_eq_u16_e32 0x80, v46
; %bb.753:                              ;   in Loop: Header=BB0_504 Depth=2
	s_xor_b32 s23, exec_lo, -1
; %bb.754:                              ;   in Loop: Header=BB0_504 Depth=2
	s_or_b32 exec_lo, exec_lo, s25
	s_and_b32 s23, s23, exec_lo
                                        ; implicit-def: $vgpr46
	s_or_saveexec_b32 s24, s24
	v_mov_b32_e32 v20, 0x7f800001
	s_xor_b32 exec_lo, exec_lo, s24
	s_cbranch_execnz .LBB0_879
.LBB0_755:                              ;   in Loop: Header=BB0_504 Depth=2
	s_or_b32 exec_lo, exec_lo, s24
	s_and_saveexec_b32 s24, s23
	s_cbranch_execz .LBB0_757
.LBB0_756:                              ;   in Loop: Header=BB0_504 Depth=2
	v_bfe_u32 v20, v19, 16, 2
	v_bfe_u32 v56, v19, 18, 5
	v_lshlrev_b32_sdwa v57, v43, v19 dst_sel:DWORD dst_unused:UNUSED_PAD src0_sel:DWORD src1_sel:WORD_1
	v_ffbh_u32_e32 v46, v20
	v_cmp_eq_u32_e32 vcc_lo, 0, v56
	v_min_u32_e32 v46, 32, v46
	v_subrev_nc_u32_e32 v47, 29, v46
	v_sub_nc_u32_e32 v46, 30, v46
	v_lshlrev_b32_sdwa v47, v47, v19 dst_sel:DWORD dst_unused:UNUSED_PAD src0_sel:DWORD src1_sel:WORD_1
	v_cndmask_b32_e32 v46, v56, v46, vcc_lo
	v_and_b32_e32 v47, 3, v47
	v_lshl_add_u32 v46, v46, 23, 0x37800000
	v_cndmask_b32_e32 v20, v20, v47, vcc_lo
	v_and_b32_e32 v47, 0x80000000, v57
	v_lshlrev_b32_e32 v20, 21, v20
	v_or3_b32 v20, v47, v46, v20
.LBB0_757:                              ;   in Loop: Header=BB0_504 Depth=2
	s_or_b32 exec_lo, exec_lo, s24
	v_and_b32_sdwa v47, v82, v42 dst_sel:DWORD dst_unused:UNUSED_PAD src0_sel:WORD_1 src1_sel:DWORD
	s_mov_b32 s23, 0
	s_mov_b32 s24, exec_lo
	v_cmpx_lt_i16_e32 0x7f, v47
	s_xor_b32 s24, exec_lo, s24
	s_cbranch_execz .LBB0_880
; %bb.758:                              ;   in Loop: Header=BB0_504 Depth=2
	s_mov_b32 s23, -1
	s_mov_b32 s25, exec_lo
	v_cmpx_eq_u16_e32 0x80, v47
; %bb.759:                              ;   in Loop: Header=BB0_504 Depth=2
	s_xor_b32 s23, exec_lo, -1
; %bb.760:                              ;   in Loop: Header=BB0_504 Depth=2
	s_or_b32 exec_lo, exec_lo, s25
	s_and_b32 s23, s23, exec_lo
                                        ; implicit-def: $vgpr47
	s_or_saveexec_b32 s24, s24
	v_mov_b32_e32 v46, 0x7f800001
	s_xor_b32 exec_lo, exec_lo, s24
	s_cbranch_execnz .LBB0_881
.LBB0_761:                              ;   in Loop: Header=BB0_504 Depth=2
	s_or_b32 exec_lo, exec_lo, s24
	s_and_saveexec_b32 s24, s23
	s_cbranch_execz .LBB0_763
.LBB0_762:                              ;   in Loop: Header=BB0_504 Depth=2
	v_bfe_u32 v46, v82, 16, 2
	v_bfe_u32 v57, v82, 18, 5
	v_lshlrev_b32_sdwa v58, v43, v82 dst_sel:DWORD dst_unused:UNUSED_PAD src0_sel:DWORD src1_sel:WORD_1
	v_ffbh_u32_e32 v47, v46
	v_cmp_eq_u32_e32 vcc_lo, 0, v57
	v_min_u32_e32 v47, 32, v47
	v_subrev_nc_u32_e32 v56, 29, v47
	v_sub_nc_u32_e32 v47, 30, v47
	v_lshlrev_b32_sdwa v56, v56, v82 dst_sel:DWORD dst_unused:UNUSED_PAD src0_sel:DWORD src1_sel:WORD_1
	v_cndmask_b32_e32 v47, v57, v47, vcc_lo
	v_and_b32_e32 v56, 3, v56
	v_lshl_add_u32 v47, v47, 23, 0x37800000
	v_cndmask_b32_e32 v46, v46, v56, vcc_lo
	v_and_b32_e32 v56, 0x80000000, v58
	v_lshlrev_b32_e32 v46, 21, v46
	v_or3_b32 v46, v56, v47, v46
.LBB0_763:                              ;   in Loop: Header=BB0_504 Depth=2
	s_or_b32 exec_lo, exec_lo, s24
	v_max_f32_e32 v46, v46, v46
	v_max_f32_e32 v20, v20, v20
	v_min_f32_e32 v20, v20, v46
.LBB0_764:                              ;   in Loop: Header=BB0_504 Depth=2
	s_or_b32 exec_lo, exec_lo, s11
	v_and_b32_e32 v46, 0x7f800000, v20
	v_cmp_ne_u32_e32 vcc_lo, 0x7f800000, v46
	v_mov_b32_e32 v46, 0x80
	s_and_saveexec_b32 s23, vcc_lo
	s_cbranch_execz .LBB0_772
; %bb.765:                              ;   in Loop: Header=BB0_504 Depth=2
	v_mov_b32_e32 v46, 0
	s_mov_b32 s24, exec_lo
	v_cmpx_ne_u32_e32 0, v20
	s_cbranch_execz .LBB0_771
; %bb.766:                              ;   in Loop: Header=BB0_504 Depth=2
	v_bfe_u32 v46, v20, 23, 8
	v_and_b32_e32 v47, 0x7fffff, v20
	v_sub_nc_u32_e32 v56, 0x70, v46
	v_cmp_gt_u32_e32 vcc_lo, 0x71, v46
	v_or_b32_e32 v57, 0x800000, v47
	v_cndmask_b32_e32 v56, 0, v56, vcc_lo
	v_cmp_eq_u32_e32 vcc_lo, 0, v46
	v_add_nc_u32_e32 v46, 0xffffff91, v46
	v_cndmask_b32_e64 v56, v56, 0x6f, vcc_lo
	v_cndmask_b32_e32 v47, v57, v47, vcc_lo
	v_cndmask_b32_e64 v46, v46, 0xffffff92, vcc_lo
	v_lshl_add_u32 v57, 0x200000, v56, -1
	v_lshrrev_b32_e32 v58, v56, v47
	v_lshlrev_b32_e64 v60, v56, 0x100000
	v_add_nc_u32_e32 v56, v56, v46
	v_and_b32_e32 v47, v57, v47
	v_bfe_u32 v59, v58, 21, 1
	v_cmp_eq_u32_e64 s11, v47, v60
	v_add_nc_u32_e32 v57, -1, v59
	v_cndmask_b32_e64 v47, 0, v57, s11
	v_lshrrev_b32_e32 v57, 23, v58
	s_mov_b32 s11, exec_lo
	v_add_nc_u32_e32 v47, v47, v58
	v_xor_b32_e32 v57, 1, v57
	v_and_b32_e32 v46, 0x1fffff, v47
	v_add_nc_u32_e32 v47, v46, v58
                                        ; implicit-def: $vgpr46
	v_cmpx_ne_u32_e64 v56, v57
	s_xor_b32 s11, exec_lo, s11
; %bb.767:                              ;   in Loop: Header=BB0_504 Depth=2
	v_cmp_lt_u32_e32 vcc_lo, 0xffffff, v47
	v_sub_nc_u32_e32 v46, v56, v57
	v_cndmask_b32_e64 v56, 0, 1, vcc_lo
	v_add_co_ci_u32_e64 v46, null, 0, v46, vcc_lo
	v_lshrrev_b32_e32 v47, v56, v47
; %bb.768:                              ;   in Loop: Header=BB0_504 Depth=2
	s_andn2_saveexec_b32 s11, s11
; %bb.769:                              ;   in Loop: Header=BB0_504 Depth=2
	v_bfe_u32 v46, v47, 23, 1
; %bb.770:                              ;   in Loop: Header=BB0_504 Depth=2
	s_or_b32 exec_lo, exec_lo, s11
	v_lshrrev_b32_e32 v47, 21, v47
	v_min_i32_e32 v56, 31, v46
	v_cmp_gt_i32_e32 vcc_lo, 32, v46
	v_and_b32_sdwa v20, v20, v40 dst_sel:DWORD dst_unused:UNUSED_PAD src0_sel:BYTE_3 src1_sel:DWORD
	v_lshlrev_b32_e32 v56, 2, v56
	v_cndmask_b32_e32 v47, 3, v47, vcc_lo
	v_and_b32_e32 v56, 0xfc, v56
	v_and_b32_e32 v57, 3, v47
	v_or_b32_e32 v46, v46, v47
	v_or3_b32 v20, v56, v20, v57
	v_cmp_ne_u32_e32 vcc_lo, 0, v46
	v_cndmask_b32_e32 v46, 0, v20, vcc_lo
.LBB0_771:                              ;   in Loop: Header=BB0_504 Depth=2
	s_or_b32 exec_lo, exec_lo, s24
.LBB0_772:                              ;   in Loop: Header=BB0_504 Depth=2
	s_or_b32 exec_lo, exec_lo, s23
                                        ; implicit-def: $vgpr47
	s_and_saveexec_b32 s11, s9
	s_xor_b32 s11, exec_lo, s11
	s_cbranch_execz .LBB0_786
; %bb.773:                              ;   in Loop: Header=BB0_504 Depth=2
	v_cmp_gt_i16_sdwa s24, v19, v119 src0_sel:BYTE_3 src1_sel:DWORD
	s_mov_b32 s23, 0
	s_and_saveexec_b32 s25, s24
	s_xor_b32 s24, exec_lo, s25
	s_cbranch_execz .LBB0_882
; %bb.774:                              ;   in Loop: Header=BB0_504 Depth=2
	v_cmp_eq_u16_sdwa s26, v19, v40 src0_sel:BYTE_3 src1_sel:DWORD
	s_mov_b32 s23, -1
	s_and_saveexec_b32 s25, s26
; %bb.775:                              ;   in Loop: Header=BB0_504 Depth=2
	s_xor_b32 s23, exec_lo, -1
; %bb.776:                              ;   in Loop: Header=BB0_504 Depth=2
	s_or_b32 exec_lo, exec_lo, s25
	s_and_b32 s23, s23, exec_lo
	s_or_saveexec_b32 s24, s24
	v_mov_b32_e32 v20, 0x7f800001
	s_xor_b32 exec_lo, exec_lo, s24
	s_cbranch_execnz .LBB0_883
.LBB0_777:                              ;   in Loop: Header=BB0_504 Depth=2
	s_or_b32 exec_lo, exec_lo, s24
	s_and_saveexec_b32 s24, s23
	s_cbranch_execz .LBB0_779
.LBB0_778:                              ;   in Loop: Header=BB0_504 Depth=2
	v_bfe_u32 v20, v19, 24, 2
	v_bfe_u32 v57, v19, 26, 5
	v_ffbh_u32_e32 v47, v20
	v_cmp_eq_u32_e32 vcc_lo, 0, v57
	v_min_u32_e32 v47, 32, v47
	v_subrev_nc_u32_e32 v56, 29, v47
	v_sub_nc_u32_e32 v47, 30, v47
	v_lshlrev_b32_sdwa v56, v56, v19 dst_sel:DWORD dst_unused:UNUSED_PAD src0_sel:DWORD src1_sel:BYTE_3
	v_cndmask_b32_e32 v47, v57, v47, vcc_lo
	v_and_b32_e32 v19, 0x80000000, v19
	v_and_b32_e32 v56, 3, v56
	v_lshl_add_u32 v47, v47, 23, 0x37800000
	v_cndmask_b32_e32 v20, v20, v56, vcc_lo
	v_lshlrev_b32_e32 v20, 21, v20
	v_or3_b32 v20, v19, v47, v20
.LBB0_779:                              ;   in Loop: Header=BB0_504 Depth=2
	s_or_b32 exec_lo, exec_lo, s24
	v_cmp_gt_i16_sdwa s24, v82, v119 src0_sel:BYTE_3 src1_sel:DWORD
	s_mov_b32 s23, 0
	s_and_saveexec_b32 s25, s24
	s_xor_b32 s24, exec_lo, s25
	s_cbranch_execz .LBB0_884
; %bb.780:                              ;   in Loop: Header=BB0_504 Depth=2
	v_cmp_eq_u16_sdwa s26, v82, v40 src0_sel:BYTE_3 src1_sel:DWORD
	s_mov_b32 s23, -1
	s_and_saveexec_b32 s25, s26
; %bb.781:                              ;   in Loop: Header=BB0_504 Depth=2
	s_xor_b32 s23, exec_lo, -1
; %bb.782:                              ;   in Loop: Header=BB0_504 Depth=2
	s_or_b32 exec_lo, exec_lo, s25
	s_and_b32 s23, s23, exec_lo
	s_or_saveexec_b32 s24, s24
	v_mov_b32_e32 v19, 0x7f800001
	s_xor_b32 exec_lo, exec_lo, s24
	s_cbranch_execnz .LBB0_885
.LBB0_783:                              ;   in Loop: Header=BB0_504 Depth=2
	s_or_b32 exec_lo, exec_lo, s24
	s_and_saveexec_b32 s24, s23
	s_cbranch_execz .LBB0_785
.LBB0_784:                              ;   in Loop: Header=BB0_504 Depth=2
	v_bfe_u32 v19, v82, 24, 2
	v_bfe_u32 v57, v82, 26, 5
	v_ffbh_u32_e32 v47, v19
	v_cmp_eq_u32_e32 vcc_lo, 0, v57
	v_min_u32_e32 v47, 32, v47
	v_subrev_nc_u32_e32 v56, 29, v47
	v_sub_nc_u32_e32 v47, 30, v47
	v_lshlrev_b32_sdwa v56, v56, v82 dst_sel:DWORD dst_unused:UNUSED_PAD src0_sel:DWORD src1_sel:BYTE_3
	v_cndmask_b32_e32 v47, v57, v47, vcc_lo
	v_and_b32_e32 v82, 0x80000000, v82
	v_and_b32_e32 v56, 3, v56
	v_lshl_add_u32 v47, v47, 23, 0x37800000
	v_cndmask_b32_e32 v19, v19, v56, vcc_lo
	v_lshlrev_b32_e32 v19, 21, v19
	v_or3_b32 v19, v82, v47, v19
.LBB0_785:                              ;   in Loop: Header=BB0_504 Depth=2
	s_or_b32 exec_lo, exec_lo, s24
	v_max_f32_e32 v19, v19, v19
	v_max_f32_e32 v20, v20, v20
                                        ; implicit-def: $vgpr82
	v_max_f32_e32 v47, v20, v19
                                        ; implicit-def: $vgpr19_vgpr20
	s_andn2_saveexec_b32 s11, s11
	s_cbranch_execz .LBB0_800
	s_branch .LBB0_787
.LBB0_786:                              ;   in Loop: Header=BB0_504 Depth=2
	s_andn2_saveexec_b32 s11, s11
	s_cbranch_execz .LBB0_800
.LBB0_787:                              ;   in Loop: Header=BB0_504 Depth=2
	v_cmp_gt_i16_sdwa s24, v19, v119 src0_sel:BYTE_3 src1_sel:DWORD
	s_mov_b32 s23, 0
	s_and_saveexec_b32 s25, s24
	s_xor_b32 s24, exec_lo, s25
	s_cbranch_execz .LBB0_886
; %bb.788:                              ;   in Loop: Header=BB0_504 Depth=2
	v_cmp_eq_u16_sdwa s26, v19, v40 src0_sel:BYTE_3 src1_sel:DWORD
	s_mov_b32 s23, -1
	s_and_saveexec_b32 s25, s26
; %bb.789:                              ;   in Loop: Header=BB0_504 Depth=2
	s_xor_b32 s23, exec_lo, -1
; %bb.790:                              ;   in Loop: Header=BB0_504 Depth=2
	s_or_b32 exec_lo, exec_lo, s25
	s_and_b32 s23, s23, exec_lo
	s_or_saveexec_b32 s24, s24
	v_mov_b32_e32 v20, 0x7f800001
	s_xor_b32 exec_lo, exec_lo, s24
	s_cbranch_execnz .LBB0_887
.LBB0_791:                              ;   in Loop: Header=BB0_504 Depth=2
	s_or_b32 exec_lo, exec_lo, s24
	s_and_saveexec_b32 s24, s23
	s_cbranch_execz .LBB0_793
.LBB0_792:                              ;   in Loop: Header=BB0_504 Depth=2
	v_bfe_u32 v20, v19, 24, 2
	v_bfe_u32 v57, v19, 26, 5
	v_ffbh_u32_e32 v47, v20
	v_cmp_eq_u32_e32 vcc_lo, 0, v57
	v_min_u32_e32 v47, 32, v47
	v_subrev_nc_u32_e32 v56, 29, v47
	v_sub_nc_u32_e32 v47, 30, v47
	v_lshlrev_b32_sdwa v56, v56, v19 dst_sel:DWORD dst_unused:UNUSED_PAD src0_sel:DWORD src1_sel:BYTE_3
	v_cndmask_b32_e32 v47, v57, v47, vcc_lo
	v_and_b32_e32 v19, 0x80000000, v19
	v_and_b32_e32 v56, 3, v56
	v_lshl_add_u32 v47, v47, 23, 0x37800000
	v_cndmask_b32_e32 v20, v20, v56, vcc_lo
	v_lshlrev_b32_e32 v20, 21, v20
	v_or3_b32 v20, v19, v47, v20
.LBB0_793:                              ;   in Loop: Header=BB0_504 Depth=2
	s_or_b32 exec_lo, exec_lo, s24
	v_cmp_gt_i16_sdwa s24, v82, v119 src0_sel:BYTE_3 src1_sel:DWORD
	s_mov_b32 s23, 0
	s_and_saveexec_b32 s25, s24
	s_xor_b32 s24, exec_lo, s25
	s_cbranch_execz .LBB0_888
; %bb.794:                              ;   in Loop: Header=BB0_504 Depth=2
	v_cmp_eq_u16_sdwa s26, v82, v40 src0_sel:BYTE_3 src1_sel:DWORD
	s_mov_b32 s23, -1
	s_and_saveexec_b32 s25, s26
; %bb.795:                              ;   in Loop: Header=BB0_504 Depth=2
	s_xor_b32 s23, exec_lo, -1
; %bb.796:                              ;   in Loop: Header=BB0_504 Depth=2
	s_or_b32 exec_lo, exec_lo, s25
	s_and_b32 s23, s23, exec_lo
	s_or_saveexec_b32 s24, s24
	v_mov_b32_e32 v19, 0x7f800001
	s_xor_b32 exec_lo, exec_lo, s24
	s_cbranch_execnz .LBB0_889
.LBB0_797:                              ;   in Loop: Header=BB0_504 Depth=2
	s_or_b32 exec_lo, exec_lo, s24
	s_and_saveexec_b32 s24, s23
	s_cbranch_execz .LBB0_799
.LBB0_798:                              ;   in Loop: Header=BB0_504 Depth=2
	v_bfe_u32 v19, v82, 24, 2
	v_bfe_u32 v57, v82, 26, 5
	v_ffbh_u32_e32 v47, v19
	v_cmp_eq_u32_e32 vcc_lo, 0, v57
	v_min_u32_e32 v47, 32, v47
	v_subrev_nc_u32_e32 v56, 29, v47
	v_sub_nc_u32_e32 v47, 30, v47
	v_lshlrev_b32_sdwa v56, v56, v82 dst_sel:DWORD dst_unused:UNUSED_PAD src0_sel:DWORD src1_sel:BYTE_3
	v_cndmask_b32_e32 v47, v57, v47, vcc_lo
	v_and_b32_e32 v82, 0x80000000, v82
	v_and_b32_e32 v56, 3, v56
	v_lshl_add_u32 v47, v47, 23, 0x37800000
	v_cndmask_b32_e32 v19, v19, v56, vcc_lo
	v_lshlrev_b32_e32 v19, 21, v19
	v_or3_b32 v19, v82, v47, v19
.LBB0_799:                              ;   in Loop: Header=BB0_504 Depth=2
	s_or_b32 exec_lo, exec_lo, s24
	v_max_f32_e32 v19, v19, v19
	v_max_f32_e32 v20, v20, v20
	v_min_f32_e32 v47, v20, v19
.LBB0_800:                              ;   in Loop: Header=BB0_504 Depth=2
	s_or_b32 exec_lo, exec_lo, s11
	v_and_b32_e32 v19, 0x7f800000, v47
	v_mov_b32_e32 v20, 0x8000
	s_mov_b32 s23, exec_lo
	v_cmpx_ne_u32_e32 0x7f800000, v19
	s_cbranch_execz .LBB0_808
; %bb.801:                              ;   in Loop: Header=BB0_504 Depth=2
	v_mov_b32_e32 v20, 0
	s_mov_b32 s24, exec_lo
	v_cmpx_ne_u32_e32 0, v47
	s_cbranch_execz .LBB0_807
; %bb.802:                              ;   in Loop: Header=BB0_504 Depth=2
	v_bfe_u32 v19, v47, 23, 8
	v_and_b32_e32 v20, 0x7fffff, v47
	v_sub_nc_u32_e32 v82, 0x70, v19
	v_cmp_gt_u32_e32 vcc_lo, 0x71, v19
	v_or_b32_e32 v56, 0x800000, v20
	v_cndmask_b32_e32 v82, 0, v82, vcc_lo
	v_cmp_eq_u32_e32 vcc_lo, 0, v19
	v_add_nc_u32_e32 v19, 0xffffff91, v19
	v_cndmask_b32_e64 v82, v82, 0x6f, vcc_lo
	v_cndmask_b32_e32 v20, v56, v20, vcc_lo
	v_cndmask_b32_e64 v19, v19, 0xffffff92, vcc_lo
	v_lshl_add_u32 v56, 0x200000, v82, -1
	v_lshrrev_b32_e32 v57, v82, v20
	v_lshlrev_b32_e64 v59, v82, 0x100000
	v_add_nc_u32_e32 v82, v82, v19
	v_and_b32_e32 v20, v56, v20
	v_bfe_u32 v58, v57, 21, 1
	v_cmp_eq_u32_e64 s11, v20, v59
	v_add_nc_u32_e32 v56, -1, v58
	v_cndmask_b32_e64 v20, 0, v56, s11
	v_lshrrev_b32_e32 v56, 23, v57
	s_mov_b32 s11, exec_lo
	v_add_nc_u32_e32 v20, v20, v57
	v_xor_b32_e32 v56, 1, v56
	v_and_b32_e32 v19, 0x1fffff, v20
	v_add_nc_u32_e32 v20, v19, v57
                                        ; implicit-def: $vgpr19
	v_cmpx_ne_u32_e64 v82, v56
	s_xor_b32 s11, exec_lo, s11
; %bb.803:                              ;   in Loop: Header=BB0_504 Depth=2
	v_cmp_lt_u32_e32 vcc_lo, 0xffffff, v20
	v_sub_nc_u32_e32 v19, v82, v56
	v_cndmask_b32_e64 v82, 0, 1, vcc_lo
	v_add_co_ci_u32_e64 v19, null, 0, v19, vcc_lo
	v_lshrrev_b32_e32 v20, v82, v20
; %bb.804:                              ;   in Loop: Header=BB0_504 Depth=2
	s_andn2_saveexec_b32 s11, s11
; %bb.805:                              ;   in Loop: Header=BB0_504 Depth=2
	v_bfe_u32 v19, v20, 23, 1
; %bb.806:                              ;   in Loop: Header=BB0_504 Depth=2
	s_or_b32 exec_lo, exec_lo, s11
	v_lshrrev_b32_e32 v20, 21, v20
	v_min_i32_e32 v82, 31, v19
	v_cmp_gt_i32_e32 vcc_lo, 32, v19
	v_and_b32_sdwa v47, v47, v40 dst_sel:DWORD dst_unused:UNUSED_PAD src0_sel:BYTE_3 src1_sel:DWORD
	v_lshlrev_b32_e32 v82, 2, v82
	v_cndmask_b32_e32 v20, 3, v20, vcc_lo
	v_and_b32_e32 v82, 0xfc, v82
	v_and_b32_e32 v56, 3, v20
	v_or_b32_e32 v19, v19, v20
	v_or3_b32 v82, v47, v82, v56
	v_cmp_ne_u32_e32 vcc_lo, 0, v19
	v_lshlrev_b32_e32 v20, 8, v82
	v_cndmask_b32_e32 v20, 0, v20, vcc_lo
.LBB0_807:                              ;   in Loop: Header=BB0_504 Depth=2
	s_or_b32 exec_lo, exec_lo, s24
.LBB0_808:                              ;   in Loop: Header=BB0_504 Depth=2
	s_or_b32 exec_lo, exec_lo, s23
	v_or_b32_e32 v52, v52, v18
	v_or_b32_e32 v17, v17, v81
	;; [unrolled: 1-line block ×4, first 2 shown]
	v_cmp_lt_u32_e32 vcc_lo, 7, v45
	s_mov_b32 s11, -1
	v_lshl_or_b32 v17, v17, 16, v52
	v_lshl_or_b32 v18, v18, 16, v19
	s_cmp_lg_u32 vcc_lo, exec_lo
	s_cbranch_scc0 .LBB0_824
; %bb.809:                              ;   in Loop: Header=BB0_504 Depth=2
	s_mov_b32 s23, exec_lo
	flat_store_byte v[70:71], v52
	v_cmpx_ne_u32_e32 1, v45
	s_cbranch_execz .LBB0_811
; %bb.810:                              ;   in Loop: Header=BB0_504 Depth=2
	v_lshrrev_b32_e32 v20, 8, v52
	flat_store_byte v[70:71], v20 offset:1
.LBB0_811:                              ;   in Loop: Header=BB0_504 Depth=2
	s_or_b32 exec_lo, exec_lo, s23
	s_mov_b32 s23, exec_lo
	v_cmpx_lt_u32_e32 2, v45
	s_cbranch_execz .LBB0_813
; %bb.812:                              ;   in Loop: Header=BB0_504 Depth=2
	flat_store_byte_d16_hi v[70:71], v17 offset:2
.LBB0_813:                              ;   in Loop: Header=BB0_504 Depth=2
	s_or_b32 exec_lo, exec_lo, s23
	s_mov_b32 s23, exec_lo
	v_cmpx_lt_u32_e32 3, v45
	s_cbranch_execz .LBB0_815
; %bb.814:                              ;   in Loop: Header=BB0_504 Depth=2
	v_lshrrev_b32_e32 v20, 24, v17
	flat_store_byte v[70:71], v20 offset:3
.LBB0_815:                              ;   in Loop: Header=BB0_504 Depth=2
	s_or_b32 exec_lo, exec_lo, s23
	s_mov_b32 s23, exec_lo
	v_cmpx_lt_u32_e32 4, v45
	s_cbranch_execz .LBB0_817
; %bb.816:                              ;   in Loop: Header=BB0_504 Depth=2
	flat_store_byte v[70:71], v19 offset:4
.LBB0_817:                              ;   in Loop: Header=BB0_504 Depth=2
	s_or_b32 exec_lo, exec_lo, s23
	s_mov_b32 s23, exec_lo
	v_cmpx_lt_u32_e32 5, v45
	s_cbranch_execz .LBB0_819
; %bb.818:                              ;   in Loop: Header=BB0_504 Depth=2
	v_lshrrev_b32_e32 v19, 8, v19
	flat_store_byte v[70:71], v19 offset:5
.LBB0_819:                              ;   in Loop: Header=BB0_504 Depth=2
	s_or_b32 exec_lo, exec_lo, s23
	s_mov_b32 s23, exec_lo
	v_cmpx_lt_u32_e32 6, v45
	s_cbranch_execz .LBB0_821
; %bb.820:                              ;   in Loop: Header=BB0_504 Depth=2
	flat_store_byte_d16_hi v[70:71], v18 offset:6
.LBB0_821:                              ;   in Loop: Header=BB0_504 Depth=2
	s_or_b32 exec_lo, exec_lo, s23
	s_and_saveexec_b32 s11, vcc_lo
	s_cbranch_execz .LBB0_823
; %bb.822:                              ;   in Loop: Header=BB0_504 Depth=2
	v_lshrrev_b32_e32 v19, 24, v18
	flat_store_byte v[70:71], v19 offset:7
.LBB0_823:                              ;   in Loop: Header=BB0_504 Depth=2
	s_or_b32 exec_lo, exec_lo, s11
	s_mov_b32 s11, 0
.LBB0_824:                              ;   in Loop: Header=BB0_504 Depth=2
	s_and_b32 vcc_lo, exec_lo, s11
	s_cbranch_vccz .LBB0_503
; %bb.825:                              ;   in Loop: Header=BB0_504 Depth=2
	global_store_dwordx2 v[70:71], v[17:18], off
	s_branch .LBB0_503
.LBB0_826:                              ;   in Loop: Header=BB0_504 Depth=2
	s_or_saveexec_b32 s24, s24
	v_mov_b32_e32 v18, 0x7f800001
	s_xor_b32 exec_lo, exec_lo, s24
	s_cbranch_execz .LBB0_525
.LBB0_827:                              ;   in Loop: Header=BB0_504 Depth=2
	v_cmp_ne_u16_sdwa s25, v17, v53 src0_sel:BYTE_0 src1_sel:DWORD
	v_mov_b32_e32 v18, 0
	s_andn2_b32 s23, s23, exec_lo
	s_and_b32 s25, s25, exec_lo
	s_or_b32 s23, s23, s25
	s_or_b32 exec_lo, exec_lo, s24
	s_and_saveexec_b32 s24, s23
	s_cbranch_execnz .LBB0_526
	s_branch .LBB0_527
.LBB0_828:                              ;   in Loop: Header=BB0_504 Depth=2
	s_or_saveexec_b32 s24, s24
	v_mov_b32_e32 v52, 0x7f800001
	s_xor_b32 exec_lo, exec_lo, s24
	s_cbranch_execz .LBB0_531
.LBB0_829:                              ;   in Loop: Header=BB0_504 Depth=2
	v_cmp_ne_u16_sdwa s25, v82, v53 src0_sel:BYTE_0 src1_sel:DWORD
	v_mov_b32_e32 v52, 0
	s_andn2_b32 s23, s23, exec_lo
	s_and_b32 s25, s25, exec_lo
	s_or_b32 s23, s23, s25
	s_or_b32 exec_lo, exec_lo, s24
	s_and_saveexec_b32 s24, s23
	s_cbranch_execnz .LBB0_532
	s_branch .LBB0_533
.LBB0_830:                              ;   in Loop: Header=BB0_504 Depth=2
	s_or_saveexec_b32 s24, s24
	v_mov_b32_e32 v18, 0x7f800001
	s_xor_b32 exec_lo, exec_lo, s24
	s_cbranch_execz .LBB0_539
.LBB0_831:                              ;   in Loop: Header=BB0_504 Depth=2
	v_cmp_ne_u16_sdwa s25, v17, v53 src0_sel:BYTE_0 src1_sel:DWORD
	v_mov_b32_e32 v18, 0
	s_andn2_b32 s23, s23, exec_lo
	s_and_b32 s25, s25, exec_lo
	s_or_b32 s23, s23, s25
	s_or_b32 exec_lo, exec_lo, s24
	s_and_saveexec_b32 s24, s23
	s_cbranch_execnz .LBB0_540
	s_branch .LBB0_541
.LBB0_832:                              ;   in Loop: Header=BB0_504 Depth=2
	s_or_saveexec_b32 s24, s24
	v_mov_b32_e32 v52, 0x7f800001
	s_xor_b32 exec_lo, exec_lo, s24
	s_cbranch_execz .LBB0_545
.LBB0_833:                              ;   in Loop: Header=BB0_504 Depth=2
	v_cmp_ne_u16_sdwa s25, v82, v53 src0_sel:BYTE_0 src1_sel:DWORD
	v_mov_b32_e32 v52, 0
	s_andn2_b32 s23, s23, exec_lo
	s_and_b32 s25, s25, exec_lo
	s_or_b32 s23, s23, s25
	s_or_b32 exec_lo, exec_lo, s24
	s_and_saveexec_b32 s24, s23
	s_cbranch_execnz .LBB0_546
	s_branch .LBB0_547
.LBB0_834:                              ;   in Loop: Header=BB0_504 Depth=2
	s_or_saveexec_b32 s24, s24
	v_mov_b32_e32 v52, 0x7f800001
	s_xor_b32 exec_lo, exec_lo, s24
	s_cbranch_execz .LBB0_561
.LBB0_835:                              ;   in Loop: Header=BB0_504 Depth=2
	v_cmp_ne_u16_sdwa s25, v17, v53 src0_sel:BYTE_1 src1_sel:DWORD
	v_mov_b32_e32 v52, 0
	s_andn2_b32 s23, s23, exec_lo
	s_and_b32 s25, s25, exec_lo
	s_or_b32 s23, s23, s25
	s_or_b32 exec_lo, exec_lo, s24
	s_and_saveexec_b32 s24, s23
	s_cbranch_execnz .LBB0_562
	s_branch .LBB0_563
.LBB0_836:                              ;   in Loop: Header=BB0_504 Depth=2
	s_or_saveexec_b32 s24, s24
	v_mov_b32_e32 v81, 0x7f800001
	s_xor_b32 exec_lo, exec_lo, s24
	s_cbranch_execz .LBB0_567
.LBB0_837:                              ;   in Loop: Header=BB0_504 Depth=2
	v_cmp_ne_u16_sdwa s25, v82, v53 src0_sel:BYTE_1 src1_sel:DWORD
	v_mov_b32_e32 v81, 0
	s_andn2_b32 s23, s23, exec_lo
	s_and_b32 s25, s25, exec_lo
	s_or_b32 s23, s23, s25
	s_or_b32 exec_lo, exec_lo, s24
	s_and_saveexec_b32 s24, s23
	s_cbranch_execnz .LBB0_568
	s_branch .LBB0_569
.LBB0_838:                              ;   in Loop: Header=BB0_504 Depth=2
	s_or_saveexec_b32 s24, s24
	v_mov_b32_e32 v52, 0x7f800001
	s_xor_b32 exec_lo, exec_lo, s24
	s_cbranch_execz .LBB0_575
.LBB0_839:                              ;   in Loop: Header=BB0_504 Depth=2
	v_cmp_ne_u16_sdwa s25, v17, v53 src0_sel:BYTE_1 src1_sel:DWORD
	v_mov_b32_e32 v52, 0
	s_andn2_b32 s23, s23, exec_lo
	s_and_b32 s25, s25, exec_lo
	s_or_b32 s23, s23, s25
	s_or_b32 exec_lo, exec_lo, s24
	s_and_saveexec_b32 s24, s23
	s_cbranch_execnz .LBB0_576
	s_branch .LBB0_577
.LBB0_840:                              ;   in Loop: Header=BB0_504 Depth=2
	s_or_saveexec_b32 s24, s24
	v_mov_b32_e32 v81, 0x7f800001
	s_xor_b32 exec_lo, exec_lo, s24
	s_cbranch_execz .LBB0_581
.LBB0_841:                              ;   in Loop: Header=BB0_504 Depth=2
	v_cmp_ne_u16_sdwa s25, v82, v53 src0_sel:BYTE_1 src1_sel:DWORD
	v_mov_b32_e32 v81, 0
	s_andn2_b32 s23, s23, exec_lo
	s_and_b32 s25, s25, exec_lo
	s_or_b32 s23, s23, s25
	s_or_b32 exec_lo, exec_lo, s24
	s_and_saveexec_b32 s24, s23
	s_cbranch_execnz .LBB0_582
	s_branch .LBB0_583
.LBB0_842:                              ;   in Loop: Header=BB0_504 Depth=2
	s_or_saveexec_b32 s24, s24
	v_mov_b32_e32 v81, 0x7f800001
	s_xor_b32 exec_lo, exec_lo, s24
	s_cbranch_execz .LBB0_597
.LBB0_843:                              ;   in Loop: Header=BB0_504 Depth=2
	v_cmp_ne_u16_e32 vcc_lo, 0, v46
	v_mov_b32_e32 v81, 0
	s_andn2_b32 s23, s23, exec_lo
	s_and_b32 s25, vcc_lo, exec_lo
	s_or_b32 s23, s23, s25
	s_or_b32 exec_lo, exec_lo, s24
	s_and_saveexec_b32 s24, s23
	s_cbranch_execnz .LBB0_598
	s_branch .LBB0_599
.LBB0_844:                              ;   in Loop: Header=BB0_504 Depth=2
	s_or_saveexec_b32 s24, s24
	v_mov_b32_e32 v46, 0x7f800001
	s_xor_b32 exec_lo, exec_lo, s24
	s_cbranch_execz .LBB0_603
.LBB0_845:                              ;   in Loop: Header=BB0_504 Depth=2
	v_cmp_ne_u16_e32 vcc_lo, 0, v47
	v_mov_b32_e32 v46, 0
	s_andn2_b32 s23, s23, exec_lo
	s_and_b32 s25, vcc_lo, exec_lo
	s_or_b32 s23, s23, s25
	s_or_b32 exec_lo, exec_lo, s24
	s_and_saveexec_b32 s24, s23
	s_cbranch_execnz .LBB0_604
	s_branch .LBB0_605
.LBB0_846:                              ;   in Loop: Header=BB0_504 Depth=2
	s_or_saveexec_b32 s24, s24
	v_mov_b32_e32 v81, 0x7f800001
	s_xor_b32 exec_lo, exec_lo, s24
	s_cbranch_execz .LBB0_611
.LBB0_847:                              ;   in Loop: Header=BB0_504 Depth=2
	v_cmp_ne_u16_e32 vcc_lo, 0, v46
	v_mov_b32_e32 v81, 0
	s_andn2_b32 s23, s23, exec_lo
	s_and_b32 s25, vcc_lo, exec_lo
	s_or_b32 s23, s23, s25
	s_or_b32 exec_lo, exec_lo, s24
	s_and_saveexec_b32 s24, s23
	s_cbranch_execnz .LBB0_612
	s_branch .LBB0_613
.LBB0_848:                              ;   in Loop: Header=BB0_504 Depth=2
	s_or_saveexec_b32 s24, s24
	v_mov_b32_e32 v46, 0x7f800001
	s_xor_b32 exec_lo, exec_lo, s24
	s_cbranch_execz .LBB0_617
.LBB0_849:                              ;   in Loop: Header=BB0_504 Depth=2
	v_cmp_ne_u16_e32 vcc_lo, 0, v47
	v_mov_b32_e32 v46, 0
	s_andn2_b32 s23, s23, exec_lo
	s_and_b32 s25, vcc_lo, exec_lo
	s_or_b32 s23, s23, s25
	s_or_b32 exec_lo, exec_lo, s24
	s_and_saveexec_b32 s24, s23
	s_cbranch_execnz .LBB0_618
	s_branch .LBB0_619
.LBB0_850:                              ;   in Loop: Header=BB0_504 Depth=2
	s_or_saveexec_b32 s24, s24
	v_mov_b32_e32 v46, 0x7f800001
	s_xor_b32 exec_lo, exec_lo, s24
	s_cbranch_execz .LBB0_633
.LBB0_851:                              ;   in Loop: Header=BB0_504 Depth=2
	v_cmp_ne_u16_sdwa s25, v17, v53 src0_sel:BYTE_3 src1_sel:DWORD
	v_mov_b32_e32 v46, 0
	s_andn2_b32 s23, s23, exec_lo
	s_and_b32 s25, s25, exec_lo
	s_or_b32 s23, s23, s25
	s_or_b32 exec_lo, exec_lo, s24
	s_and_saveexec_b32 s24, s23
	s_cbranch_execnz .LBB0_634
	s_branch .LBB0_635
.LBB0_852:                              ;   in Loop: Header=BB0_504 Depth=2
	s_or_saveexec_b32 s24, s24
	v_mov_b32_e32 v17, 0x7f800001
	s_xor_b32 exec_lo, exec_lo, s24
	s_cbranch_execz .LBB0_639
.LBB0_853:                              ;   in Loop: Header=BB0_504 Depth=2
	v_cmp_ne_u16_sdwa s25, v82, v53 src0_sel:BYTE_3 src1_sel:DWORD
	v_mov_b32_e32 v17, 0
	s_andn2_b32 s23, s23, exec_lo
	s_and_b32 s25, s25, exec_lo
	s_or_b32 s23, s23, s25
	s_or_b32 exec_lo, exec_lo, s24
	s_and_saveexec_b32 s24, s23
	s_cbranch_execnz .LBB0_640
	s_branch .LBB0_641
.LBB0_854:                              ;   in Loop: Header=BB0_504 Depth=2
	s_or_saveexec_b32 s24, s24
	v_mov_b32_e32 v46, 0x7f800001
	s_xor_b32 exec_lo, exec_lo, s24
	s_cbranch_execz .LBB0_647
.LBB0_855:                              ;   in Loop: Header=BB0_504 Depth=2
	v_cmp_ne_u16_sdwa s25, v17, v53 src0_sel:BYTE_3 src1_sel:DWORD
	v_mov_b32_e32 v46, 0
	s_andn2_b32 s23, s23, exec_lo
	s_and_b32 s25, s25, exec_lo
	s_or_b32 s23, s23, s25
	s_or_b32 exec_lo, exec_lo, s24
	s_and_saveexec_b32 s24, s23
	s_cbranch_execnz .LBB0_648
	s_branch .LBB0_649
.LBB0_856:                              ;   in Loop: Header=BB0_504 Depth=2
	s_or_saveexec_b32 s24, s24
	v_mov_b32_e32 v17, 0x7f800001
	s_xor_b32 exec_lo, exec_lo, s24
	s_cbranch_execz .LBB0_653
.LBB0_857:                              ;   in Loop: Header=BB0_504 Depth=2
	v_cmp_ne_u16_sdwa s25, v82, v53 src0_sel:BYTE_3 src1_sel:DWORD
	v_mov_b32_e32 v17, 0
	s_andn2_b32 s23, s23, exec_lo
	s_and_b32 s25, s25, exec_lo
	s_or_b32 s23, s23, s25
	s_or_b32 exec_lo, exec_lo, s24
	s_and_saveexec_b32 s24, s23
	s_cbranch_execnz .LBB0_654
	s_branch .LBB0_655
.LBB0_858:                              ;   in Loop: Header=BB0_504 Depth=2
	s_or_saveexec_b32 s24, s24
	v_mov_b32_e32 v20, 0x7f800001
	s_xor_b32 exec_lo, exec_lo, s24
	s_cbranch_execz .LBB0_669
.LBB0_859:                              ;   in Loop: Header=BB0_504 Depth=2
	v_cmp_ne_u16_sdwa s25, v19, v53 src0_sel:BYTE_0 src1_sel:DWORD
	v_mov_b32_e32 v20, 0
	s_andn2_b32 s23, s23, exec_lo
	s_and_b32 s25, s25, exec_lo
	s_or_b32 s23, s23, s25
	s_or_b32 exec_lo, exec_lo, s24
	s_and_saveexec_b32 s24, s23
	s_cbranch_execnz .LBB0_670
	s_branch .LBB0_671
.LBB0_860:                              ;   in Loop: Header=BB0_504 Depth=2
	s_or_saveexec_b32 s24, s24
	v_mov_b32_e32 v96, 0x7f800001
	s_xor_b32 exec_lo, exec_lo, s24
	s_cbranch_execz .LBB0_675
.LBB0_861:                              ;   in Loop: Header=BB0_504 Depth=2
	v_cmp_ne_u16_sdwa s25, v82, v53 src0_sel:BYTE_0 src1_sel:DWORD
	v_mov_b32_e32 v96, 0
	s_andn2_b32 s23, s23, exec_lo
	s_and_b32 s25, s25, exec_lo
	s_or_b32 s23, s23, s25
	s_or_b32 exec_lo, exec_lo, s24
	s_and_saveexec_b32 s24, s23
	s_cbranch_execnz .LBB0_676
	s_branch .LBB0_677
.LBB0_862:                              ;   in Loop: Header=BB0_504 Depth=2
	s_or_saveexec_b32 s24, s24
	v_mov_b32_e32 v20, 0x7f800001
	s_xor_b32 exec_lo, exec_lo, s24
	s_cbranch_execz .LBB0_683
.LBB0_863:                              ;   in Loop: Header=BB0_504 Depth=2
	v_cmp_ne_u16_sdwa s25, v19, v53 src0_sel:BYTE_0 src1_sel:DWORD
	v_mov_b32_e32 v20, 0
	s_andn2_b32 s23, s23, exec_lo
	s_and_b32 s25, s25, exec_lo
	s_or_b32 s23, s23, s25
	s_or_b32 exec_lo, exec_lo, s24
	s_and_saveexec_b32 s24, s23
	s_cbranch_execnz .LBB0_684
	s_branch .LBB0_685
.LBB0_864:                              ;   in Loop: Header=BB0_504 Depth=2
	s_or_saveexec_b32 s24, s24
	v_mov_b32_e32 v96, 0x7f800001
	s_xor_b32 exec_lo, exec_lo, s24
	s_cbranch_execz .LBB0_689
.LBB0_865:                              ;   in Loop: Header=BB0_504 Depth=2
	v_cmp_ne_u16_sdwa s25, v82, v53 src0_sel:BYTE_0 src1_sel:DWORD
	v_mov_b32_e32 v96, 0
	s_andn2_b32 s23, s23, exec_lo
	s_and_b32 s25, s25, exec_lo
	s_or_b32 s23, s23, s25
	s_or_b32 exec_lo, exec_lo, s24
	s_and_saveexec_b32 s24, s23
	s_cbranch_execnz .LBB0_690
	s_branch .LBB0_691
.LBB0_866:                              ;   in Loop: Header=BB0_504 Depth=2
	s_or_saveexec_b32 s24, s24
	v_mov_b32_e32 v20, 0x7f800001
	s_xor_b32 exec_lo, exec_lo, s24
	s_cbranch_execz .LBB0_705
.LBB0_867:                              ;   in Loop: Header=BB0_504 Depth=2
	v_cmp_ne_u16_sdwa s25, v19, v53 src0_sel:BYTE_1 src1_sel:DWORD
	v_mov_b32_e32 v20, 0
	s_andn2_b32 s23, s23, exec_lo
	s_and_b32 s25, s25, exec_lo
	s_or_b32 s23, s23, s25
	s_or_b32 exec_lo, exec_lo, s24
	s_and_saveexec_b32 s24, s23
	s_cbranch_execnz .LBB0_706
	s_branch .LBB0_707
.LBB0_868:                              ;   in Loop: Header=BB0_504 Depth=2
	s_or_saveexec_b32 s24, s24
	v_mov_b32_e32 v97, 0x7f800001
	s_xor_b32 exec_lo, exec_lo, s24
	s_cbranch_execz .LBB0_711
.LBB0_869:                              ;   in Loop: Header=BB0_504 Depth=2
	v_cmp_ne_u16_sdwa s25, v82, v53 src0_sel:BYTE_1 src1_sel:DWORD
	v_mov_b32_e32 v97, 0
	s_andn2_b32 s23, s23, exec_lo
	s_and_b32 s25, s25, exec_lo
	s_or_b32 s23, s23, s25
	s_or_b32 exec_lo, exec_lo, s24
	s_and_saveexec_b32 s24, s23
	s_cbranch_execnz .LBB0_712
	s_branch .LBB0_713
.LBB0_870:                              ;   in Loop: Header=BB0_504 Depth=2
	s_or_saveexec_b32 s24, s24
	v_mov_b32_e32 v20, 0x7f800001
	s_xor_b32 exec_lo, exec_lo, s24
	s_cbranch_execz .LBB0_719
.LBB0_871:                              ;   in Loop: Header=BB0_504 Depth=2
	v_cmp_ne_u16_sdwa s25, v19, v53 src0_sel:BYTE_1 src1_sel:DWORD
	v_mov_b32_e32 v20, 0
	s_andn2_b32 s23, s23, exec_lo
	s_and_b32 s25, s25, exec_lo
	s_or_b32 s23, s23, s25
	s_or_b32 exec_lo, exec_lo, s24
	s_and_saveexec_b32 s24, s23
	s_cbranch_execnz .LBB0_720
	s_branch .LBB0_721
.LBB0_872:                              ;   in Loop: Header=BB0_504 Depth=2
	s_or_saveexec_b32 s24, s24
	v_mov_b32_e32 v97, 0x7f800001
	s_xor_b32 exec_lo, exec_lo, s24
	s_cbranch_execz .LBB0_725
.LBB0_873:                              ;   in Loop: Header=BB0_504 Depth=2
	v_cmp_ne_u16_sdwa s25, v82, v53 src0_sel:BYTE_1 src1_sel:DWORD
	v_mov_b32_e32 v97, 0
	s_andn2_b32 s23, s23, exec_lo
	s_and_b32 s25, s25, exec_lo
	s_or_b32 s23, s23, s25
	s_or_b32 exec_lo, exec_lo, s24
	s_and_saveexec_b32 s24, s23
	s_cbranch_execnz .LBB0_726
	s_branch .LBB0_727
.LBB0_874:                              ;   in Loop: Header=BB0_504 Depth=2
	s_or_saveexec_b32 s24, s24
	v_mov_b32_e32 v20, 0x7f800001
	s_xor_b32 exec_lo, exec_lo, s24
	s_cbranch_execz .LBB0_741
.LBB0_875:                              ;   in Loop: Header=BB0_504 Depth=2
	v_cmp_ne_u16_e32 vcc_lo, 0, v46
	v_mov_b32_e32 v20, 0
	s_andn2_b32 s23, s23, exec_lo
	s_and_b32 s25, vcc_lo, exec_lo
	s_or_b32 s23, s23, s25
	s_or_b32 exec_lo, exec_lo, s24
	s_and_saveexec_b32 s24, s23
	s_cbranch_execnz .LBB0_742
	s_branch .LBB0_743
.LBB0_876:                              ;   in Loop: Header=BB0_504 Depth=2
	s_or_saveexec_b32 s24, s24
	v_mov_b32_e32 v46, 0x7f800001
	s_xor_b32 exec_lo, exec_lo, s24
	s_cbranch_execz .LBB0_747
.LBB0_877:                              ;   in Loop: Header=BB0_504 Depth=2
	v_cmp_ne_u16_e32 vcc_lo, 0, v47
	v_mov_b32_e32 v46, 0
	s_andn2_b32 s23, s23, exec_lo
	s_and_b32 s25, vcc_lo, exec_lo
	s_or_b32 s23, s23, s25
	s_or_b32 exec_lo, exec_lo, s24
	s_and_saveexec_b32 s24, s23
	s_cbranch_execnz .LBB0_748
	s_branch .LBB0_749
.LBB0_878:                              ;   in Loop: Header=BB0_504 Depth=2
	s_or_saveexec_b32 s24, s24
	v_mov_b32_e32 v20, 0x7f800001
	s_xor_b32 exec_lo, exec_lo, s24
	s_cbranch_execz .LBB0_755
.LBB0_879:                              ;   in Loop: Header=BB0_504 Depth=2
	v_cmp_ne_u16_e32 vcc_lo, 0, v46
	v_mov_b32_e32 v20, 0
	s_andn2_b32 s23, s23, exec_lo
	s_and_b32 s25, vcc_lo, exec_lo
	s_or_b32 s23, s23, s25
	s_or_b32 exec_lo, exec_lo, s24
	s_and_saveexec_b32 s24, s23
	s_cbranch_execnz .LBB0_756
	s_branch .LBB0_757
.LBB0_880:                              ;   in Loop: Header=BB0_504 Depth=2
	s_or_saveexec_b32 s24, s24
	v_mov_b32_e32 v46, 0x7f800001
	s_xor_b32 exec_lo, exec_lo, s24
	s_cbranch_execz .LBB0_761
.LBB0_881:                              ;   in Loop: Header=BB0_504 Depth=2
	v_cmp_ne_u16_e32 vcc_lo, 0, v47
	v_mov_b32_e32 v46, 0
	s_andn2_b32 s23, s23, exec_lo
	s_and_b32 s25, vcc_lo, exec_lo
	s_or_b32 s23, s23, s25
	s_or_b32 exec_lo, exec_lo, s24
	s_and_saveexec_b32 s24, s23
	s_cbranch_execnz .LBB0_762
	s_branch .LBB0_763
.LBB0_882:                              ;   in Loop: Header=BB0_504 Depth=2
	s_or_saveexec_b32 s24, s24
	v_mov_b32_e32 v20, 0x7f800001
	s_xor_b32 exec_lo, exec_lo, s24
	s_cbranch_execz .LBB0_777
.LBB0_883:                              ;   in Loop: Header=BB0_504 Depth=2
	v_cmp_ne_u16_sdwa s25, v19, v53 src0_sel:BYTE_3 src1_sel:DWORD
	v_mov_b32_e32 v20, 0
	s_andn2_b32 s23, s23, exec_lo
	s_and_b32 s25, s25, exec_lo
	s_or_b32 s23, s23, s25
	s_or_b32 exec_lo, exec_lo, s24
	s_and_saveexec_b32 s24, s23
	s_cbranch_execnz .LBB0_778
	s_branch .LBB0_779
.LBB0_884:                              ;   in Loop: Header=BB0_504 Depth=2
	s_or_saveexec_b32 s24, s24
	v_mov_b32_e32 v19, 0x7f800001
	s_xor_b32 exec_lo, exec_lo, s24
	s_cbranch_execz .LBB0_783
.LBB0_885:                              ;   in Loop: Header=BB0_504 Depth=2
	v_cmp_ne_u16_sdwa s25, v82, v53 src0_sel:BYTE_3 src1_sel:DWORD
	v_mov_b32_e32 v19, 0
	s_andn2_b32 s23, s23, exec_lo
	s_and_b32 s25, s25, exec_lo
	s_or_b32 s23, s23, s25
	s_or_b32 exec_lo, exec_lo, s24
	s_and_saveexec_b32 s24, s23
	s_cbranch_execnz .LBB0_784
	s_branch .LBB0_785
.LBB0_886:                              ;   in Loop: Header=BB0_504 Depth=2
	s_or_saveexec_b32 s24, s24
	v_mov_b32_e32 v20, 0x7f800001
	s_xor_b32 exec_lo, exec_lo, s24
	s_cbranch_execz .LBB0_791
.LBB0_887:                              ;   in Loop: Header=BB0_504 Depth=2
	v_cmp_ne_u16_sdwa s25, v19, v53 src0_sel:BYTE_3 src1_sel:DWORD
	v_mov_b32_e32 v20, 0
	s_andn2_b32 s23, s23, exec_lo
	s_and_b32 s25, s25, exec_lo
	s_or_b32 s23, s23, s25
	s_or_b32 exec_lo, exec_lo, s24
	s_and_saveexec_b32 s24, s23
	s_cbranch_execnz .LBB0_792
	s_branch .LBB0_793
.LBB0_888:                              ;   in Loop: Header=BB0_504 Depth=2
	s_or_saveexec_b32 s24, s24
	v_mov_b32_e32 v19, 0x7f800001
	s_xor_b32 exec_lo, exec_lo, s24
	s_cbranch_execz .LBB0_797
.LBB0_889:                              ;   in Loop: Header=BB0_504 Depth=2
	v_cmp_ne_u16_sdwa s25, v82, v53 src0_sel:BYTE_3 src1_sel:DWORD
	v_mov_b32_e32 v19, 0
	s_andn2_b32 s23, s23, exec_lo
	s_and_b32 s25, s25, exec_lo
	s_or_b32 s23, s23, s25
	s_or_b32 exec_lo, exec_lo, s24
	s_and_saveexec_b32 s24, s23
	s_cbranch_execnz .LBB0_798
	s_branch .LBB0_799
.LBB0_890:                              ;   in Loop: Header=BB0_21 Depth=1
	s_or_b32 exec_lo, exec_lo, s12
	s_and_saveexec_b32 s11, s7
	s_cbranch_execz .LBB0_903
.LBB0_891:                              ;   in Loop: Header=BB0_21 Depth=1
	s_and_saveexec_b32 s12, s19
	s_xor_b32 s12, exec_lo, s12
	s_cbranch_execz .LBB0_908
; %bb.892:                              ;   in Loop: Header=BB0_21 Depth=1
	s_and_saveexec_b32 s22, s8
	s_cbranch_execz .LBB0_907
; %bb.893:                              ;   in Loop: Header=BB0_21 Depth=1
	s_mov_b32 s24, exec_lo
	s_mov_b32 s23, exec_lo
	v_mbcnt_lo_u32_b32 v17, s24, 0
	s_waitcnt vmcnt(0) lgkmcnt(0)
	s_waitcnt_vscnt null, 0x0
	buffer_gl1_inv
	buffer_gl0_inv
	v_cmpx_eq_u32_e32 0, v17
	s_cbranch_execz .LBB0_895
; %bb.894:                              ;   in Loop: Header=BB0_21 Depth=1
	s_bcnt1_i32_b32 s24, s24
	v_mov_b32_e32 v52, s24
	ds_add_u64 v0, v[52:53]
	s_trap 2
.LBB0_895:                              ;   in Loop: Header=BB0_21 Depth=1
	s_or_b32 exec_lo, exec_lo, s23
	s_trap 2
	ds_read_b64 v[17:18], v0
	s_waitcnt lgkmcnt(0)
	buffer_gl0_inv
	v_add_co_u32 v2, vcc_lo, v2, v100
	v_add_co_ci_u32_e64 v3, null, 0, v3, vcc_lo
	s_mov_b32 s23, exec_lo
	v_cmpx_lt_u64_e64 v[17:18], v[2:3]
	s_cbranch_execz .LBB0_906
; %bb.896:                              ;   in Loop: Header=BB0_21 Depth=1
	s_mov_b32 s24, 0
	s_mov_b32 s27, 0
                                        ; implicit-def: $sgpr25
                                        ; implicit-def: $sgpr26
	s_inst_prefetch 0x1
	s_branch .LBB0_898
	.p2align	6
.LBB0_897:                              ;   in Loop: Header=BB0_898 Depth=2
	s_or_b32 exec_lo, exec_lo, s29
	s_and_b32 s28, exec_lo, s40
	s_or_b32 s24, s28, s24
	s_andn2_b32 s25, s25, exec_lo
	s_and_b32 s28, s26, exec_lo
	s_or_b32 s25, s25, s28
	s_andn2_b32 exec_lo, exec_lo, s24
	s_cbranch_execz .LBB0_904
.LBB0_898:                              ;   Parent Loop BB0_21 Depth=1
                                        ; =>  This Inner Loop Header: Depth=2
	s_add_i32 s27, s27, 1
	s_cmpk_lg_i32 s27, 0x2710
	s_cselect_b32 s28, -1, 0
	s_and_b32 vcc_lo, exec_lo, s28
	s_cbranch_vccz .LBB0_900
; %bb.899:                              ;   in Loop: Header=BB0_898 Depth=2
	s_mov_b32 s40, -1
	s_or_b32 s26, s26, exec_lo
	s_and_saveexec_b32 s29, s28
	s_cbranch_execz .LBB0_897
	s_branch .LBB0_901
	.p2align	6
.LBB0_900:                              ;   in Loop: Header=BB0_898 Depth=2
	s_trap 2
	ds_read_b64 v[17:18], v0
	s_andn2_b32 s28, s28, exec_lo
	s_mov_b32 s27, 0
	s_waitcnt lgkmcnt(0)
	flat_load_dword v17, v[17:18] glc dlc
	s_waitcnt vmcnt(0) lgkmcnt(0)
	buffer_gl1_inv
	buffer_gl0_inv
	v_cmp_eq_u32_e32 vcc_lo, 0, v17
	s_and_b32 s29, vcc_lo, exec_lo
	s_or_b32 s28, s28, s29
	s_mov_b32 s40, -1
	s_or_b32 s26, s26, exec_lo
	s_and_saveexec_b32 s29, s28
	s_cbranch_execz .LBB0_897
.LBB0_901:                              ;   in Loop: Header=BB0_898 Depth=2
	s_sleep 1
	s_trap 2
	ds_read_b64 v[17:18], v0
	s_waitcnt lgkmcnt(0)
	buffer_gl0_inv
	s_andn2_b32 s26, s26, exec_lo
	v_cmp_ge_u64_e32 vcc_lo, v[17:18], v[2:3]
	s_orn2_b32 s40, vcc_lo, exec_lo
	s_branch .LBB0_897
.LBB0_902:                              ;   in Loop: Header=BB0_21 Depth=1
	s_or_b32 exec_lo, exec_lo, s22
	s_or_b32 exec_lo, exec_lo, s12
	s_and_saveexec_b32 s11, s7
	s_cbranch_execnz .LBB0_891
.LBB0_903:                              ;   in Loop: Header=BB0_21 Depth=1
	s_or_b32 exec_lo, exec_lo, s11
	s_and_saveexec_b32 s11, s10
	s_cbranch_execz .LBB0_20
	s_branch .LBB0_911
.LBB0_904:                              ;   in Loop: Header=BB0_21 Depth=1
	s_inst_prefetch 0x2
	s_or_b32 exec_lo, exec_lo, s24
	s_and_saveexec_b32 s24, s25
	s_xor_b32 s24, exec_lo, s24
	s_cbranch_execz .LBB0_906
; %bb.905:                              ;   in Loop: Header=BB0_21 Depth=1
	ds_write_b32 v0, v118
	s_trap 2
.LBB0_906:                              ;   in Loop: Header=BB0_21 Depth=1
	s_or_b32 exec_lo, exec_lo, s23
	;;#ASMSTART
	s_wakeup
	;;#ASMEND
.LBB0_907:                              ;   in Loop: Header=BB0_21 Depth=1
	s_or_b32 exec_lo, exec_lo, s22
.LBB0_908:                              ;   in Loop: Header=BB0_21 Depth=1
	s_andn2_saveexec_b32 s12, s12
	s_cbranch_execz .LBB0_910
; %bb.909:                              ;   in Loop: Header=BB0_21 Depth=1
	s_waitcnt vmcnt(0) lgkmcnt(0)
	s_waitcnt_vscnt null, 0x0
	buffer_gl1_inv
	buffer_gl0_inv
	s_barrier
.LBB0_910:                              ;   in Loop: Header=BB0_21 Depth=1
	s_or_b32 exec_lo, exec_lo, s12
	s_or_b32 exec_lo, exec_lo, s11
	s_and_saveexec_b32 s11, s10
	s_cbranch_execz .LBB0_20
.LBB0_911:                              ;   in Loop: Header=BB0_21 Depth=1
	v_add_co_u32 v38, vcc_lo, v38, 1
	v_add_co_ci_u32_e64 v39, null, 0, v39, vcc_lo
	s_waitcnt vmcnt(0) lgkmcnt(0)
	s_waitcnt_vscnt null, 0x0
	flat_store_dwordx2 v[48:49], v[38:39]
	s_branch .LBB0_20
.LBB0_912:
	s_or_b32 exec_lo, exec_lo, s17
	s_and_saveexec_b32 s5, s16
	s_cbranch_execz .LBB0_915
.LBB0_913:
	s_waitcnt vmcnt(0) lgkmcnt(0)
	flat_store_dwordx2 v[29:30], v[38:39] offset:104
	s_or_b32 exec_lo, exec_lo, s5
	s_and_saveexec_b32 s5, s4
	s_cbranch_execnz .LBB0_916
	s_branch .LBB0_917
.LBB0_914:
	s_or_b32 exec_lo, exec_lo, s20
	s_or_b32 exec_lo, exec_lo, s17
	s_and_saveexec_b32 s5, s16
	s_cbranch_execnz .LBB0_913
.LBB0_915:
	s_or_b32 exec_lo, exec_lo, s5
	s_and_saveexec_b32 s5, s4
	s_cbranch_execz .LBB0_917
.LBB0_916:
	s_waitcnt vmcnt(0) lgkmcnt(0)
	flat_store_dwordx2 v[27:28], v[15:16] offset:104
.LBB0_917:
	s_or_b32 exec_lo, exec_lo, s5
	s_mov_b32 s4, exec_lo
	v_cmpx_ne_u32_e32 32, v1
	s_cbranch_execz .LBB0_935
; %bb.918:
	v_cmp_ne_u32_sdwa s5, v1, v0 src0_sel:DWORD src1_sel:WORD_0
	s_and_saveexec_b32 s6, s5
	s_xor_b32 s5, exec_lo, s6
	s_cbranch_execz .LBB0_933
; %bb.919:
	v_and_b32_e32 v0, 31, v31
	s_mov_b32 s6, exec_lo
	v_cmpx_eq_u32_e32 0, v0
	s_cbranch_execz .LBB0_932
; %bb.920:
	s_mov_b32 s8, exec_lo
	s_mov_b32 s7, exec_lo
	v_mbcnt_lo_u32_b32 v0, s8, 0
	s_waitcnt vmcnt(0) lgkmcnt(0)
	s_waitcnt_vscnt null, 0x0
	buffer_gl1_inv
	buffer_gl0_inv
	v_cmpx_eq_u32_e32 0, v0
	s_cbranch_execz .LBB0_922
; %bb.921:
	s_bcnt1_i32_b32 s8, s8
	v_mov_b32_e32 v5, 0
	v_mov_b32_e32 v4, s8
	ds_add_u64 v0, v[4:5]
	s_trap 2
.LBB0_922:
	s_or_b32 exec_lo, exec_lo, s7
	s_trap 2
	ds_read_b64 v[4:5], v0
	s_waitcnt lgkmcnt(0)
	buffer_gl0_inv
	v_lshrrev_b32_e32 v0, 5, v1
	s_mov_b32 s7, exec_lo
	v_add_co_u32 v0, vcc_lo, v2, v0
	v_add_co_ci_u32_e64 v1, null, 0, v3, vcc_lo
	v_cmpx_lt_u64_e64 v[4:5], v[0:1]
	s_cbranch_execz .LBB0_931
; %bb.923:
	s_mov_b32 s8, 0
	s_mov_b32 s11, 0
                                        ; implicit-def: $sgpr9
                                        ; implicit-def: $sgpr10
	s_inst_prefetch 0x1
	s_branch .LBB0_925
	.p2align	6
.LBB0_924:                              ;   in Loop: Header=BB0_925 Depth=1
	s_or_b32 exec_lo, exec_lo, s13
	s_and_b32 s12, exec_lo, s14
	s_or_b32 s8, s12, s8
	s_andn2_b32 s9, s9, exec_lo
	s_and_b32 s12, s10, exec_lo
	s_or_b32 s9, s9, s12
	s_andn2_b32 exec_lo, exec_lo, s8
	s_cbranch_execz .LBB0_929
.LBB0_925:                              ; =>This Inner Loop Header: Depth=1
	s_add_i32 s11, s11, 1
	s_cmpk_lg_i32 s11, 0x2710
	s_cselect_b32 s12, -1, 0
	s_and_b32 vcc_lo, exec_lo, s12
	s_cbranch_vccz .LBB0_927
; %bb.926:                              ;   in Loop: Header=BB0_925 Depth=1
	s_mov_b32 s14, -1
	s_or_b32 s10, s10, exec_lo
	s_and_saveexec_b32 s13, s12
	s_cbranch_execz .LBB0_924
	s_branch .LBB0_928
	.p2align	6
.LBB0_927:                              ;   in Loop: Header=BB0_925 Depth=1
	s_trap 2
	ds_read_b64 v[2:3], v0
	s_andn2_b32 s12, s12, exec_lo
	s_mov_b32 s11, 0
	s_waitcnt lgkmcnt(0)
	flat_load_dword v2, v[2:3] glc dlc
	s_waitcnt vmcnt(0) lgkmcnt(0)
	buffer_gl1_inv
	buffer_gl0_inv
	v_cmp_eq_u32_e32 vcc_lo, 0, v2
	s_and_b32 s13, vcc_lo, exec_lo
	s_or_b32 s12, s12, s13
	s_mov_b32 s14, -1
	s_or_b32 s10, s10, exec_lo
	s_and_saveexec_b32 s13, s12
	s_cbranch_execz .LBB0_924
.LBB0_928:                              ;   in Loop: Header=BB0_925 Depth=1
	s_sleep 1
	s_trap 2
	ds_read_b64 v[2:3], v0
	s_waitcnt lgkmcnt(0)
	buffer_gl0_inv
	s_andn2_b32 s10, s10, exec_lo
	v_cmp_ge_u64_e32 vcc_lo, v[2:3], v[0:1]
	s_orn2_b32 s14, vcc_lo, exec_lo
	s_branch .LBB0_924
.LBB0_929:
	s_inst_prefetch 0x2
	s_or_b32 exec_lo, exec_lo, s8
	s_and_saveexec_b32 s8, s9
	s_xor_b32 s8, exec_lo, s8
	s_cbranch_execz .LBB0_931
; %bb.930:
	v_mov_b32_e32 v0, 1
	ds_write_b32 v0, v0
	s_trap 2
.LBB0_931:
	s_or_b32 exec_lo, exec_lo, s7
	;;#ASMSTART
	s_wakeup
	;;#ASMEND
.LBB0_932:
	s_or_b32 exec_lo, exec_lo, s6
.LBB0_933:
	s_andn2_saveexec_b32 s5, s5
	s_cbranch_execz .LBB0_935
; %bb.934:
	s_waitcnt vmcnt(0) lgkmcnt(0)
	s_waitcnt_vscnt null, 0x0
	buffer_gl1_inv
	buffer_gl0_inv
	s_barrier
.LBB0_935:
	s_or_b32 exec_lo, exec_lo, s4
	s_clause 0x16
	buffer_load_dword v78, off, s[0:3], s32
	buffer_load_dword v77, off, s[0:3], s32 offset:4
	buffer_load_dword v76, off, s[0:3], s32 offset:8
	;; [unrolled: 1-line block ×22, first 2 shown]
	s_waitcnt vmcnt(0) lgkmcnt(0)
	s_setpc_b64 s[30:31]
.Lfunc_end0:
	.size	_ZN12_GLOBAL__N_17runRingI12rccl_bfloat810FuncMinMaxIS1_E7ProtoLLLi0ELi1ELi0EEEviiP15ncclDevWorkColl, .Lfunc_end0-_ZN12_GLOBAL__N_17runRingI12rccl_bfloat810FuncMinMaxIS1_E7ProtoLLLi0ELi1ELi0EEEviiP15ncclDevWorkColl
                                        ; -- End function
	.set .L_ZN12_GLOBAL__N_17runRingI12rccl_bfloat810FuncMinMaxIS1_E7ProtoLLLi0ELi1ELi0EEEviiP15ncclDevWorkColl.num_vgpr, 120
	.set .L_ZN12_GLOBAL__N_17runRingI12rccl_bfloat810FuncMinMaxIS1_E7ProtoLLLi0ELi1ELi0EEEviiP15ncclDevWorkColl.num_agpr, 0
	.set .L_ZN12_GLOBAL__N_17runRingI12rccl_bfloat810FuncMinMaxIS1_E7ProtoLLLi0ELi1ELi0EEEviiP15ncclDevWorkColl.numbered_sgpr, 45
	.set .L_ZN12_GLOBAL__N_17runRingI12rccl_bfloat810FuncMinMaxIS1_E7ProtoLLLi0ELi1ELi0EEEviiP15ncclDevWorkColl.num_named_barrier, 0
	.set .L_ZN12_GLOBAL__N_17runRingI12rccl_bfloat810FuncMinMaxIS1_E7ProtoLLLi0ELi1ELi0EEEviiP15ncclDevWorkColl.private_seg_size, 96
	.set .L_ZN12_GLOBAL__N_17runRingI12rccl_bfloat810FuncMinMaxIS1_E7ProtoLLLi0ELi1ELi0EEEviiP15ncclDevWorkColl.uses_vcc, 1
	.set .L_ZN12_GLOBAL__N_17runRingI12rccl_bfloat810FuncMinMaxIS1_E7ProtoLLLi0ELi1ELi0EEEviiP15ncclDevWorkColl.uses_flat_scratch, 1
	.set .L_ZN12_GLOBAL__N_17runRingI12rccl_bfloat810FuncMinMaxIS1_E7ProtoLLLi0ELi1ELi0EEEviiP15ncclDevWorkColl.has_dyn_sized_stack, 0
	.set .L_ZN12_GLOBAL__N_17runRingI12rccl_bfloat810FuncMinMaxIS1_E7ProtoLLLi0ELi1ELi0EEEviiP15ncclDevWorkColl.has_recursion, 0
	.set .L_ZN12_GLOBAL__N_17runRingI12rccl_bfloat810FuncMinMaxIS1_E7ProtoLLLi0ELi1ELi0EEEviiP15ncclDevWorkColl.has_indirect_call, 0
	.section	.AMDGPU.csdata,"",@progbits
; Function info:
; codeLenInByte = 30376
; TotalNumSgprs: 47
; NumVgprs: 120
; ScratchSize: 96
; MemoryBound: 0
	.text
	.p2align	2                               ; -- Begin function _Z53ncclDevFunc_ReduceScatter_RING_LL_MinMax_f8e5m2_0_0_1v
	.type	_Z53ncclDevFunc_ReduceScatter_RING_LL_MinMax_f8e5m2_0_0_1v,@function
_Z53ncclDevFunc_ReduceScatter_RING_LL_MinMax_f8e5m2_0_0_1v: ; @_Z53ncclDevFunc_ReduceScatter_RING_LL_MinMax_f8e5m2_0_0_1v
; %bb.0:
	s_waitcnt vmcnt(0) expcnt(0) lgkmcnt(0)
	s_mov_b32 s58, s33
	s_mov_b32 s33, s32
	s_or_saveexec_b32 s4, -1
	buffer_store_dword v42, off, s[0:3], s33 offset:8 ; 4-byte Folded Spill
	s_mov_b32 exec_lo, s4
	s_addk_i32 s32, 0x200
	buffer_store_dword v40, off, s[0:3], s33 offset:4 ; 4-byte Folded Spill
	buffer_store_dword v41, off, s[0:3], s33 ; 4-byte Folded Spill
	v_writelane_b32 v42, s30, 0
	v_writelane_b32 v42, s31, 1
	s_trap 2
	ds_read_b32 v0, v0
	v_and_b32_e32 v40, 0x3ff, v31
	s_mov_b32 s45, s12
	s_mov_b64 s[46:47], s[8:9]
	s_mov_b32 s4, exec_lo
	s_waitcnt lgkmcnt(0)
	v_cmpx_lt_i32_e64 v40, v0
	s_cbranch_execz .LBB1_5
; %bb.1:
	s_load_dword s5, s[46:47], 0x0
	v_mov_b32_e32 v1, 0
	v_mov_b32_e32 v3, v40
                                        ; implicit-def: $vgpr4
	s_waitcnt lgkmcnt(0)
	s_cmp_lt_u32 s45, s5
	s_cselect_b32 s5, 12, 18
	s_add_u32 s6, s46, s5
	s_addc_u32 s7, s47, 0
	s_mov_b32 s5, 0
	global_load_ushort v1, v1, s[6:7]
	s_trap 2
	ds_read_b32 v2, v0
	s_mov_b32 s6, 0
	s_waitcnt vmcnt(0) lgkmcnt(0)
	v_mul_lo_u32 v2, v2, v1
	s_branch .LBB1_3
	.p2align	6
.LBB1_2:                                ;   in Loop: Header=BB1_3 Depth=1
	s_or_b32 exec_lo, exec_lo, s7
	v_add_nc_u32_e32 v3, v3, v1
	v_add_nc_u32_e32 v4, v4, v2
	v_cmp_ge_i32_e32 vcc_lo, v3, v0
	s_or_b32 s6, vcc_lo, s6
	s_andn2_b32 exec_lo, exec_lo, s6
	s_cbranch_execz .LBB1_5
.LBB1_3:                                ; =>This Inner Loop Header: Depth=1
	ds_read_b32 v5, v4
	s_mov_b32 s7, exec_lo
	s_waitcnt lgkmcnt(0)
	v_and_b32_e32 v5, 0x1000000, v5
	v_cmpx_ne_u32_e32 0, v5
	s_cbranch_execz .LBB1_2
; %bb.4:                                ;   in Loop: Header=BB1_3 Depth=1
	ds_read_b64 v[5:6], v4 offset:104
	s_waitcnt lgkmcnt(0)
	flat_load_ubyte v5, v[5:6]
	v_mov_b32_e32 v6, s5
	s_waitcnt vmcnt(0) lgkmcnt(0)
	v_and_b32_e32 v5, 0xffff, v5
	ds_write_b64 v4, v[5:6] offset:104
	s_branch .LBB1_2
.LBB1_5:
	s_or_b32 exec_lo, exec_lo, s4
	s_waitcnt lgkmcnt(0)
	s_waitcnt_vscnt null, 0x0
	s_barrier
	buffer_gl0_inv
	s_trap 2
	ds_read_b32 v0, v0
	s_waitcnt lgkmcnt(0)
	v_cmp_gt_i32_e32 vcc_lo, 1, v0
	s_cbranch_vccnz .LBB1_13
; %bb.6:
	v_mov_b32_e32 v41, 5
	s_mov_b32 s56, 0
	s_inst_prefetch 0x1
	s_branch .LBB1_8
	.p2align	6
.LBB1_7:                                ;   in Loop: Header=BB1_8 Depth=1
	s_or_b32 exec_lo, exec_lo, s57
	s_trap 2
	ds_read_b32 v0, v0
	s_add_i32 s56, s56, 1
	s_waitcnt lgkmcnt(0)
	v_cmp_lt_i32_e32 vcc_lo, s56, v0
	s_cbranch_vccz .LBB1_13
.LBB1_8:                                ; =>This Inner Loop Header: Depth=1
	s_trap 2
	ds_read_b32 v0, v0
	s_cmp_eq_u32 s56, 0
	s_cbranch_scc1 .LBB1_11
; %bb.9:                                ;   in Loop: Header=BB1_8 Depth=1
	s_trap 2
	s_waitcnt lgkmcnt(0)
	ds_read_b32 v1, v0
	s_waitcnt lgkmcnt(0)
	v_xor_b32_e32 v1, v1, v0
	v_and_b32_e32 v1, 0xff0000, v1
	v_cmp_eq_u32_e32 vcc_lo, 0, v1
	s_cbranch_vccnz .LBB1_11
; %bb.10:                               ;   in Loop: Header=BB1_8 Depth=1
	s_barrier
	buffer_gl0_inv
	ds_read_b32 v0, v0
.LBB1_11:                               ;   in Loop: Header=BB1_8 Depth=1
	s_waitcnt lgkmcnt(0)
	v_lshlrev_b32_sdwa v1, v41, v0 dst_sel:DWORD dst_unused:UNUSED_PAD src0_sel:DWORD src1_sel:BYTE_2
	s_mov_b32 s57, exec_lo
	v_cmpx_lt_u32_e64 v40, v1
	s_cbranch_execz .LBB1_7
; %bb.12:                               ;   in Loop: Header=BB1_8 Depth=1
	s_mov_b64 s[4:5], src_shared_base
	v_mov_b32_e32 v0, v40
	v_mov_b32_e32 v3, s5
	s_getpc_b64 s[6:7]
	s_add_u32 s6, s6, _ZN12_GLOBAL__N_17runRingI12rccl_bfloat810FuncMinMaxIS1_E7ProtoLLLi0ELi1ELi0EEEviiP15ncclDevWorkColl@rel32@lo+4
	s_addc_u32 s7, s7, _ZN12_GLOBAL__N_17runRingI12rccl_bfloat810FuncMinMaxIS1_E7ProtoLLLi0ELi1ELi0EEEviiP15ncclDevWorkColl@rel32@hi+12
	s_mov_b64 s[8:9], s[46:47]
	s_mov_b32 s12, s45
	s_swappc_b64 s[30:31], s[6:7]
	s_branch .LBB1_7
.LBB1_13:
	s_inst_prefetch 0x2
	s_clause 0x1
	buffer_load_dword v41, off, s[0:3], s33
	buffer_load_dword v40, off, s[0:3], s33 offset:4
	v_readlane_b32 s30, v42, 0
	v_readlane_b32 s31, v42, 1
	s_mov_b32 s32, s33
	s_or_saveexec_b32 s4, -1
	buffer_load_dword v42, off, s[0:3], s33 offset:8 ; 4-byte Folded Reload
	s_mov_b32 exec_lo, s4
	s_mov_b32 s33, s58
	s_waitcnt vmcnt(0)
	s_setpc_b64 s[30:31]
.Lfunc_end1:
	.size	_Z53ncclDevFunc_ReduceScatter_RING_LL_MinMax_f8e5m2_0_0_1v, .Lfunc_end1-_Z53ncclDevFunc_ReduceScatter_RING_LL_MinMax_f8e5m2_0_0_1v
                                        ; -- End function
	.set .L_Z53ncclDevFunc_ReduceScatter_RING_LL_MinMax_f8e5m2_0_0_1v.num_vgpr, max(43, .L_ZN12_GLOBAL__N_17runRingI12rccl_bfloat810FuncMinMaxIS1_E7ProtoLLLi0ELi1ELi0EEEviiP15ncclDevWorkColl.num_vgpr)
	.set .L_Z53ncclDevFunc_ReduceScatter_RING_LL_MinMax_f8e5m2_0_0_1v.num_agpr, max(0, .L_ZN12_GLOBAL__N_17runRingI12rccl_bfloat810FuncMinMaxIS1_E7ProtoLLLi0ELi1ELi0EEEviiP15ncclDevWorkColl.num_agpr)
	.set .L_Z53ncclDevFunc_ReduceScatter_RING_LL_MinMax_f8e5m2_0_0_1v.numbered_sgpr, max(59, .L_ZN12_GLOBAL__N_17runRingI12rccl_bfloat810FuncMinMaxIS1_E7ProtoLLLi0ELi1ELi0EEEviiP15ncclDevWorkColl.numbered_sgpr)
	.set .L_Z53ncclDevFunc_ReduceScatter_RING_LL_MinMax_f8e5m2_0_0_1v.num_named_barrier, max(0, .L_ZN12_GLOBAL__N_17runRingI12rccl_bfloat810FuncMinMaxIS1_E7ProtoLLLi0ELi1ELi0EEEviiP15ncclDevWorkColl.num_named_barrier)
	.set .L_Z53ncclDevFunc_ReduceScatter_RING_LL_MinMax_f8e5m2_0_0_1v.private_seg_size, 16+max(.L_ZN12_GLOBAL__N_17runRingI12rccl_bfloat810FuncMinMaxIS1_E7ProtoLLLi0ELi1ELi0EEEviiP15ncclDevWorkColl.private_seg_size)
	.set .L_Z53ncclDevFunc_ReduceScatter_RING_LL_MinMax_f8e5m2_0_0_1v.uses_vcc, or(1, .L_ZN12_GLOBAL__N_17runRingI12rccl_bfloat810FuncMinMaxIS1_E7ProtoLLLi0ELi1ELi0EEEviiP15ncclDevWorkColl.uses_vcc)
	.set .L_Z53ncclDevFunc_ReduceScatter_RING_LL_MinMax_f8e5m2_0_0_1v.uses_flat_scratch, or(0, .L_ZN12_GLOBAL__N_17runRingI12rccl_bfloat810FuncMinMaxIS1_E7ProtoLLLi0ELi1ELi0EEEviiP15ncclDevWorkColl.uses_flat_scratch)
	.set .L_Z53ncclDevFunc_ReduceScatter_RING_LL_MinMax_f8e5m2_0_0_1v.has_dyn_sized_stack, or(0, .L_ZN12_GLOBAL__N_17runRingI12rccl_bfloat810FuncMinMaxIS1_E7ProtoLLLi0ELi1ELi0EEEviiP15ncclDevWorkColl.has_dyn_sized_stack)
	.set .L_Z53ncclDevFunc_ReduceScatter_RING_LL_MinMax_f8e5m2_0_0_1v.has_recursion, or(1, .L_ZN12_GLOBAL__N_17runRingI12rccl_bfloat810FuncMinMaxIS1_E7ProtoLLLi0ELi1ELi0EEEviiP15ncclDevWorkColl.has_recursion)
	.set .L_Z53ncclDevFunc_ReduceScatter_RING_LL_MinMax_f8e5m2_0_0_1v.has_indirect_call, or(0, .L_ZN12_GLOBAL__N_17runRingI12rccl_bfloat810FuncMinMaxIS1_E7ProtoLLLi0ELi1ELi0EEEviiP15ncclDevWorkColl.has_indirect_call)
	.section	.AMDGPU.csdata,"",@progbits
; Function info:
; codeLenInByte = 644
; TotalNumSgprs: 61
; NumVgprs: 120
; ScratchSize: 112
; MemoryBound: 0
	.text
	.p2align	2                               ; -- Begin function _ZN12_GLOBAL__N_17runRingI12rccl_bfloat810FuncMinMaxIS1_E7ProtoLLLi0ELi2ELi0EEEviiP15ncclDevWorkColl
	.type	_ZN12_GLOBAL__N_17runRingI12rccl_bfloat810FuncMinMaxIS1_E7ProtoLLLi0ELi2ELi0EEEviiP15ncclDevWorkColl,@function
_ZN12_GLOBAL__N_17runRingI12rccl_bfloat810FuncMinMaxIS1_E7ProtoLLLi0ELi2ELi0EEEviiP15ncclDevWorkColl: ; @_ZN12_GLOBAL__N_17runRingI12rccl_bfloat810FuncMinMaxIS1_E7ProtoLLLi0ELi2ELi0EEEviiP15ncclDevWorkColl
; %bb.0:
	s_waitcnt vmcnt(0) expcnt(0) lgkmcnt(0)
	buffer_store_dword v40, off, s[0:3], s32 offset:88 ; 4-byte Folded Spill
	buffer_store_dword v41, off, s[0:3], s32 offset:84 ; 4-byte Folded Spill
	;; [unrolled: 1-line block ×22, first 2 shown]
	buffer_store_dword v78, off, s[0:3], s32 ; 4-byte Folded Spill
	s_trap 2
	s_clause 0x2
	flat_load_dword v10, v[2:3]
	flat_load_dwordx4 v[5:8], v[2:3] offset:72
	flat_load_dwordx2 v[17:18], v[2:3] offset:88
	v_mov_b32_e32 v4, v0
                                        ; implicit-def: $vgpr25_vgpr26
	s_waitcnt vmcnt(2) lgkmcnt(2)
	v_not_b32_sdwa v0, v10 dst_sel:DWORD dst_unused:UNUSED_PAD src0_sel:BYTE_0
	ds_read_b32 v9, v0
	ds_read_b64 v[23:24], v0
	v_add_nc_u32_sdwa v11, v10, v0 dst_sel:DWORD dst_unused:UNUSED_PAD src0_sel:BYTE_1 src1_sel:DWORD
	v_ashrrev_i32_e32 v12, 31, v11
	s_waitcnt vmcnt(1) lgkmcnt(3)
	v_mul_lo_u32 v13, v8, v11
	v_mad_u64_u32 v[19:20], null, v7, v11, 0
	v_mul_lo_u32 v11, v7, v12
	v_add3_u32 v66, v20, v11, v13
	s_waitcnt lgkmcnt(1)
	v_readfirstlane_b32 s14, v9
	v_cmp_ne_u32_sdwa s4, v9, v10 src0_sel:DWORD src1_sel:BYTE_0
                                        ; implicit-def: $vgpr20_vgpr21
	s_and_saveexec_b32 s5, s4
	s_xor_b32 s4, exec_lo, s5
	s_cbranch_execz .LBB2_6
; %bb.1:
	v_cmp_ne_u32_sdwa s5, v9, v10 src0_sel:DWORD src1_sel:BYTE_1
                                        ; implicit-def: $vgpr20_vgpr21
                                        ; implicit-def: $vgpr25_vgpr26
	s_and_saveexec_b32 s6, s5
	s_xor_b32 s5, exec_lo, s6
	s_cbranch_execz .LBB2_3
; %bb.2:
	flat_load_dwordx2 v[10:11], v[2:3] offset:96
	v_add_nc_u32_e32 v0, v9, v0
	v_ashrrev_i32_e32 v9, 31, v0
	v_mul_lo_u32 v12, v8, v0
	v_mad_u64_u32 v[25:26], null, v7, v0, v[5:6]
	v_mul_lo_u32 v9, v7, v9
	v_add3_u32 v26, v12, v26, v9
	s_waitcnt vmcnt(0) lgkmcnt(0)
	v_lshrrev_b64 v[20:21], 17, v[10:11]
.LBB2_3:
	s_andn2_saveexec_b32 s5, s5
	s_cbranch_execz .LBB2_5
; %bb.4:
	flat_load_dword v0, v[2:3] offset:100
	v_add_co_u32 v25, vcc_lo, v19, v5
	s_waitcnt vmcnt(1)
	v_mov_b32_e32 v7, v17
	v_add_co_ci_u32_e64 v26, null, v66, v6, vcc_lo
	v_mov_b32_e32 v8, v18
	s_waitcnt vmcnt(0) lgkmcnt(0)
	v_lshrrev_b32_e32 v20, 6, v0
.LBB2_5:
	s_or_b32 exec_lo, exec_lo, s5
.LBB2_6:
	s_andn2_saveexec_b32 s4, s4
	s_cbranch_execz .LBB2_8
; %bb.7:
	flat_load_dwordx2 v[7:8], v[2:3] offset:96
	v_mov_b32_e32 v25, 0
	v_mov_b32_e32 v26, 0
	s_waitcnt vmcnt(0) lgkmcnt(0)
	v_lshlrev_b64 v[20:21], 4, v[7:8]
	v_mov_b32_e32 v8, v6
	v_mov_b32_e32 v7, v5
.LBB2_8:
	s_or_b32 exec_lo, exec_lo, s4
	s_load_dword s4, s[8:9], 0x0
	v_mov_b32_e32 v14, 0
	s_clause 0x2
	flat_load_dwordx2 v[52:53], v[2:3] offset:104
	flat_load_ushort v16, v[2:3] offset:8
	flat_load_dword v15, v[2:3] offset:4
	v_and_b32_e32 v38, 31, v4
	v_mov_b32_e32 v27, 0
	v_mov_b32_e32 v28, 0
	s_mov_b32 s6, 0
	s_waitcnt lgkmcnt(0)
	s_cmp_lt_u32 s12, s4
	s_cselect_b32 s4, 12, 18
	s_add_u32 s4, s8, s4
	s_addc_u32 s5, s9, 0
	flat_load_dwordx4 v[9:12], v[2:3] offset:16
	global_load_ushort v0, v14, s[4:5]
	s_trap 2
	v_cmp_eq_u32_e64 s4, 0, v38
	s_waitcnt vmcnt(2)
	v_lshrrev_b64 v[2:3], 31, v[15:16]
	v_and_b32_e32 v2, 3, v2
	v_and_b32_e32 v15, 0xffff, v2
	s_waitcnt vmcnt(0)
	ds_read_b32 v13, v0
	s_waitcnt lgkmcnt(0)
	v_cmp_gt_i32_e32 vcc_lo, 0, v13
	v_readfirstlane_b32 s5, v13
	s_cbranch_vccnz .LBB2_10
; %bb.9:
	s_trap 2
	ds_read_b64 v[2:3], v0
	v_lshlrev_b64 v[13:14], 3, v[13:14]
	s_mov_b32 s6, 1
	s_waitcnt lgkmcnt(0)
	v_add_co_u32 v2, vcc_lo, v2, v13
	v_add_co_ci_u32_e64 v3, null, v3, v14, vcc_lo
	flat_load_dwordx2 v[2:3], v[2:3]
	s_waitcnt vmcnt(0) lgkmcnt(0)
	v_mad_u64_u32 v[2:3], null, 0xa8, v15, v[2:3]
	s_clause 0x1
	flat_load_dwordx2 v[32:33], v[2:3] offset:504
	flat_load_dwordx2 v[34:35], v[2:3] offset:608
	v_add_co_u32 v29, vcc_lo, 0x1f8, v2
	v_add_co_ci_u32_e64 v30, null, 0, v3, vcc_lo
	v_cndmask_b32_e64 v2, 0, v29, s4
	v_cndmask_b32_e64 v3, 0, v30, s4
	s_branch .LBB2_11
.LBB2_10:
	v_mov_b32_e32 v29, 0
	v_mov_b32_e32 v2, 0
	;; [unrolled: 1-line block ×4, first 2 shown]
                                        ; implicit-def: $vgpr34_vgpr35
                                        ; implicit-def: $vgpr32_vgpr33
.LBB2_11:
	s_trap 2
	ds_read_b32 v13, v0
	s_waitcnt lgkmcnt(0)
	v_cmp_gt_i32_e32 vcc_lo, 0, v13
	s_cbranch_vccnz .LBB2_13
; %bb.12:
	s_trap 2
	ds_read_b64 v[21:22], v0
	v_mov_b32_e32 v14, 0
	v_lshlrev_b64 v[13:14], 3, v[13:14]
	s_waitcnt lgkmcnt(0)
	v_add_co_u32 v13, vcc_lo, v21, v13
	v_add_co_ci_u32_e64 v14, null, v22, v14, vcc_lo
	v_cmp_eq_u32_e32 vcc_lo, 0, v38
	flat_load_dwordx2 v[13:14], v[13:14]
	s_waitcnt vmcnt(0) lgkmcnt(0)
	v_mad_u64_u32 v[27:28], null, 0xa8, v15, v[13:14]
	s_clause 0x1
	flat_load_dwordx2 v[36:37], v[27:28]
	flat_load_dwordx2 v[21:22], v[27:28] offset:104
	v_cndmask_b32_e32 v16, 0, v28, vcc_lo
	v_cndmask_b32_e32 v15, 0, v27, vcc_lo
	s_branch .LBB2_14
.LBB2_13:
	v_mov_b32_e32 v15, 0
	v_mov_b32_e32 v16, 0
                                        ; implicit-def: $vgpr21_vgpr22
                                        ; implicit-def: $vgpr36_vgpr37
.LBB2_14:
	v_subrev_nc_u32_e32 v13, 32, v1
	v_cmp_gt_u32_e32 vcc_lo, s6, v38
	v_mov_b32_e32 v48, 0
	v_mov_b32_e32 v49, 0
                                        ; implicit-def: $vgpr38_vgpr39
	v_cmp_ge_i32_e64 s4, v4, v13
	v_mov_b32_e32 v13, 0
	v_mov_b32_e32 v14, 0
	s_and_b32 s16, s4, vcc_lo
	s_and_saveexec_b32 s4, s16
	s_cbranch_execz .LBB2_16
; %bb.15:
	s_clause 0x1
	flat_load_dwordx2 v[48:49], v[2:3] offset:56
	flat_load_dwordx2 v[38:39], v[2:3] offset:104
.LBB2_16:
	s_or_b32 exec_lo, exec_lo, s4
	v_mov_b32_e32 v50, 0
	v_mov_b32_e32 v51, 0
	v_cmp_gt_u32_e64 s4, s6, v4
                                        ; implicit-def: $vgpr54_vgpr55
	s_and_saveexec_b32 s6, s4
	s_cbranch_execz .LBB2_18
; %bb.17:
	flat_load_dwordx2 v[50:51], v[15:16] offset:56
	s_waitcnt vmcnt(0) lgkmcnt(0)
	flat_load_dwordx2 v[54:55], v[50:51] glc dlc
	s_waitcnt vmcnt(0)
	flat_load_dwordx4 v[13:16], v[15:16] offset:96
.LBB2_18:
	s_or_b32 exec_lo, exec_lo, s6
	v_mov_b32_e32 v2, 0
	v_mov_b32_e32 v3, 0
	s_mov_b32 s17, exec_lo
	v_cmpx_ne_u64_e32 0, v[7:8]
	s_cbranch_execz .LBB2_912
; %bb.19:
	s_ashr_i32 s6, s5, 31
	s_ashr_i32 s15, s14, 31
	s_lshr_b32 s6, s6, 29
	v_add_co_u32 v2, vcc_lo, v17, v5
	s_add_i32 s5, s5, s6
	s_lshl_b64 s[6:7], s[14:15], 2
	v_add_co_ci_u32_e64 v3, null, v18, v6, vcc_lo
	v_add_co_u32 v5, vcc_lo, v23, s6
	v_add_co_ci_u32_e64 v6, null, s7, v24, vcc_lo
	v_add_co_u32 v98, vcc_lo, v2, v19
	v_and_b32_e32 v2, 31, v31
	v_lshlrev_b32_e32 v101, 3, v4
	v_mov_b32_e32 v53, 0
	s_ashr_i32 s8, s5, 3
	v_add_co_ci_u32_e64 v99, null, v3, v66, vcc_lo
	v_add_co_u32 v66, vcc_lo, v5, -4
	s_and_b32 s15, s8, -16
	v_cmp_eq_u32_e64 s8, 0, v2
	v_and_b32_e32 v2, 1, v52
	v_add_co_ci_u32_e64 v67, null, -1, v6, vcc_lo
	v_add_co_u32 v103, vcc_lo, v11, v101
	v_mov_b32_e32 v5, v53
	v_add_co_ci_u32_e64 v112, null, 0, v12, vcc_lo
	v_add_co_u32 v113, vcc_lo, v9, v101
	v_cmp_eq_u32_e64 s9, 1, v2
	v_add_co_ci_u32_e64 v114, null, 0, v10, vcc_lo
	v_add_co_u32 v2, vcc_lo, v25, v11
	v_lshlrev_b64 v[9:10], 4, v[4:5]
	v_add_co_ci_u32_e64 v3, null, v26, v12, vcc_lo
	v_add_co_u32 v5, vcc_lo, v2, v101
	v_mov_b32_e32 v2, v53
	v_add_co_ci_u32_e64 v6, null, 0, v3, vcc_lo
	s_waitcnt vmcnt(1) lgkmcnt(1)
	v_add_co_u32 v116, vcc_lo, v36, v9
	s_ashr_i32 s18, s5, 7
	v_mov_b32_e32 v68, 0
	v_cmp_ne_u64_e64 s5, 0, v[50:51]
	s_waitcnt vmcnt(0) lgkmcnt(0)
	v_cmp_ne_u64_e64 s6, 0, v[13:14]
	v_cmp_ne_u64_e64 s10, 0, v[48:49]
	v_add_co_ci_u32_e64 v117, null, v37, v10, vcc_lo
	v_lshlrev_b64 v[9:10], 4, v[1:2]
	v_mov_b32_e32 v2, 0
	v_and_b32_e32 v64, 0x1fffff0, v20
	v_mov_b32_e32 v65, v53
	v_mov_b32_e32 v69, 0
	v_cmp_ne_u32_e64 s7, 32, v1
	v_cmp_ne_u32_sdwa s19, v1, v0 src0_sel:DWORD src1_sel:WORD_0
	v_lshrrev_b32_e32 v100, 5, v1
	v_lshlrev_b32_e32 v102, 3, v1
	v_lshlrev_b32_e32 v115, 6, v1
	v_mov_b32_e32 v118, 1
	v_mov_b32_e32 v119, 0x7f
	;; [unrolled: 1-line block ×8, first 2 shown]
	s_cmp_gt_i32 s14, 2
	s_mov_b32 s13, 0
	s_cselect_b32 s21, -1, 0
	s_mov_b32 s20, 0
	s_branch .LBB2_21
.LBB2_20:                               ;   in Loop: Header=BB2_21 Depth=1
	s_or_b32 exec_lo, exec_lo, s11
	v_add_co_u32 v68, vcc_lo, v68, v64
	v_add_co_ci_u32_e64 v69, null, 0, v69, vcc_lo
	v_add_co_u32 v34, vcc_lo, v34, 1
	v_add_co_ci_u32_e64 v35, null, 0, v35, vcc_lo
	v_cmp_ge_u64_e32 vcc_lo, v[68:69], v[7:8]
	v_add_co_u32 v5, s11, v5, v64
	v_add_co_ci_u32_e64 v6, null, 0, v6, s11
	s_or_b32 s20, vcc_lo, s20
	s_andn2_b32 exec_lo, exec_lo, s20
	s_cbranch_execz .LBB2_914
.LBB2_21:                               ; =>This Loop Header: Depth=1
                                        ;     Child Loop BB2_26 Depth 2
                                        ;     Child Loop BB2_45 Depth 2
	;; [unrolled: 1-line block ×5, first 2 shown]
                                        ;       Child Loop BB2_75 Depth 3
                                        ;       Child Loop BB2_94 Depth 3
	;; [unrolled: 1-line block ×3, first 2 shown]
                                        ;         Child Loop BB2_118 Depth 4
                                        ;       Child Loop BB2_484 Depth 3
                                        ;       Child Loop BB2_493 Depth 3
                                        ;     Child Loop BB2_504 Depth 2
                                        ;       Child Loop BB2_512 Depth 3
                                        ;     Child Loop BB2_898 Depth 2
	s_waitcnt vmcnt(0) lgkmcnt(0)
	flat_load_dword v19, v[66:67]
	v_sub_co_u32 v17, vcc_lo, v7, v68
	v_sub_co_ci_u32_e64 v18, null, v8, v69, vcc_lo
	v_cmp_lt_u64_e32 vcc_lo, v[64:65], v[17:18]
	v_cndmask_b32_e32 v20, v17, v64, vcc_lo
	v_lshl_add_u32 v17, v20, 1, 14
	v_and_b32_e32 v46, 0x7fffff0, v17
	s_and_saveexec_b32 s12, s5
	s_cbranch_execz .LBB2_37
; %bb.22:                               ;   in Loop: Header=BB2_21 Depth=1
	v_add_co_u32 v17, vcc_lo, v15, 1
	v_add_co_ci_u32_e64 v18, null, 0, v16, vcc_lo
	v_add_co_u32 v70, vcc_lo, v54, 8
	v_add_co_ci_u32_e64 v71, null, 0, v55, vcc_lo
	s_mov_b32 s22, exec_lo
	v_cmpx_lt_u64_e64 v[70:71], v[17:18]
	s_cbranch_execz .LBB2_34
; %bb.23:                               ;   in Loop: Header=BB2_21 Depth=1
	s_mov_b32 s23, 0
	s_mov_b32 s27, 0
	v_cmp_eq_u32_e32 vcc_lo, 0, v44
                                        ; implicit-def: $sgpr24
                                        ; implicit-def: $sgpr25
                                        ; implicit-def: $sgpr26
	s_branch .LBB2_26
.LBB2_24:                               ;   in Loop: Header=BB2_26 Depth=2
	s_or_b32 exec_lo, exec_lo, s42
	s_andn2_b32 s11, s26, exec_lo
	s_and_b32 s26, s40, exec_lo
	s_andn2_b32 s25, s25, exec_lo
	s_and_b32 s29, s29, exec_lo
	s_or_b32 s26, s11, s26
	s_or_b32 s25, s25, s29
.LBB2_25:                               ;   in Loop: Header=BB2_26 Depth=2
	s_or_b32 exec_lo, exec_lo, s28
	s_and_b32 s11, exec_lo, s25
	s_or_b32 s23, s11, s23
	s_andn2_b32 s11, s24, exec_lo
	s_and_b32 s24, s26, exec_lo
	s_or_b32 s24, s11, s24
	s_andn2_b32 exec_lo, exec_lo, s23
	s_cbranch_execz .LBB2_31
.LBB2_26:                               ;   Parent Loop BB2_21 Depth=1
                                        ; =>  This Inner Loop Header: Depth=2
	s_sleep 1
	s_waitcnt vmcnt(0) lgkmcnt(0)
	flat_load_dwordx2 v[54:55], v[50:51] glc dlc
	v_mov_b32_e32 v44, 1
	s_or_b32 s26, s26, exec_lo
	s_or_b32 s25, s25, exec_lo
                                        ; implicit-def: $vgpr16
	s_and_saveexec_b32 s28, vcc_lo
	s_cbranch_execz .LBB2_25
; %bb.27:                               ;   in Loop: Header=BB2_26 Depth=2
	s_add_i32 s27, s27, 1
	s_mov_b32 s29, -1
	s_cmpk_lg_i32 s27, 0x2710
	s_mov_b32 s40, -1
	s_cselect_b32 s41, -1, 0
	s_cmpk_eq_i32 s27, 0x2710
                                        ; implicit-def: $vgpr16
	s_cbranch_scc1 .LBB2_29
; %bb.28:                               ;   in Loop: Header=BB2_26 Depth=2
	v_mov_b32_e32 v44, 1
	s_and_saveexec_b32 s42, s41
	s_cbranch_execz .LBB2_24
	s_branch .LBB2_30
.LBB2_29:                               ;   in Loop: Header=BB2_26 Depth=2
	s_trap 2
	ds_read_b64 v[70:71], v0
	s_andn2_b32 s27, s41, exec_lo
	s_mov_b32 s40, 0
	s_waitcnt vmcnt(0) lgkmcnt(0)
	s_waitcnt_vscnt null, 0x0
	flat_load_dword v16, v[70:71] glc dlc
	s_waitcnt vmcnt(0) lgkmcnt(0)
	buffer_gl1_inv
	buffer_gl0_inv
	v_cmp_eq_u32_e64 s11, 0, v16
	s_and_b32 s11, s11, exec_lo
	s_or_b32 s41, s27, s11
	s_mov_b32 s27, 0
	v_mov_b32_e32 v44, 1
	s_and_saveexec_b32 s42, s41
	s_cbranch_execz .LBB2_24
.LBB2_30:                               ;   in Loop: Header=BB2_26 Depth=2
	s_waitcnt vmcnt(0) lgkmcnt(0)
	v_add_co_u32 v70, s11, v54, 8
	v_add_co_ci_u32_e64 v71, null, 0, v55, s11
	v_mov_b32_e32 v44, 0
	s_or_b32 s40, s40, exec_lo
	v_cmp_ge_u64_e64 s11, v[70:71], v[17:18]
	s_orn2_b32 s29, s11, exec_lo
	s_branch .LBB2_24
.LBB2_31:                               ;   in Loop: Header=BB2_21 Depth=1
	s_or_b32 exec_lo, exec_lo, s23
	s_xor_b32 s11, s24, -1
	s_and_saveexec_b32 s23, s11
	s_xor_b32 s11, exec_lo, s23
	s_cbranch_execz .LBB2_33
; %bb.32:                               ;   in Loop: Header=BB2_21 Depth=1
	v_mov_b32_e32 v44, 1
	s_waitcnt vmcnt(0) lgkmcnt(0)
	s_waitcnt_vscnt null, 0x0
	ds_write_b32 v0, v16
	s_trap 2
.LBB2_33:                               ;   in Loop: Header=BB2_21 Depth=1
	s_or_b32 exec_lo, exec_lo, s11
.LBB2_34:                               ;   in Loop: Header=BB2_21 Depth=1
	s_or_b32 exec_lo, exec_lo, s22
	s_and_saveexec_b32 s11, s6
	s_cbranch_execz .LBB2_36
; %bb.35:                               ;   in Loop: Header=BB2_21 Depth=1
	v_and_b32_e32 v52, 0x7ffffff8, v15
	v_and_b32_e32 v16, 7, v15
	v_cmp_eq_u64_e32 vcc_lo, 0x7ffffff8, v[52:53]
	v_mad_u64_u32 v[70:71], null, v16, 24, v[13:14]
	v_cndmask_b32_e64 v15, v46, s15, vcc_lo
	v_ashrrev_i32_e32 v16, 31, v15
	flat_store_dwordx2 v[70:71], v[15:16] offset:8
	s_waitcnt_vscnt null, 0x0
.LBB2_36:                               ;   in Loop: Header=BB2_21 Depth=1
	s_or_b32 exec_lo, exec_lo, s11
	v_mov_b32_e32 v15, v17
	v_mov_b32_e32 v16, v18
.LBB2_37:                               ;   in Loop: Header=BB2_21 Depth=1
	s_or_b32 exec_lo, exec_lo, s12
	s_and_saveexec_b32 s11, s7
	s_cbranch_execz .LBB2_56
; %bb.38:                               ;   in Loop: Header=BB2_21 Depth=1
	s_and_saveexec_b32 s12, s19
	s_xor_b32 s12, exec_lo, s12
	s_cbranch_execz .LBB2_53
; %bb.39:                               ;   in Loop: Header=BB2_21 Depth=1
	s_and_saveexec_b32 s22, s8
	s_cbranch_execz .LBB2_52
; %bb.40:                               ;   in Loop: Header=BB2_21 Depth=1
	s_mov_b32 s24, exec_lo
	s_mov_b32 s23, exec_lo
	v_mbcnt_lo_u32_b32 v17, s24, 0
	s_waitcnt vmcnt(0) lgkmcnt(0)
	s_waitcnt_vscnt null, 0x0
	buffer_gl1_inv
	buffer_gl0_inv
	v_cmpx_eq_u32_e32 0, v17
	s_cbranch_execz .LBB2_42
; %bb.41:                               ;   in Loop: Header=BB2_21 Depth=1
	s_bcnt1_i32_b32 s24, s24
	v_mov_b32_e32 v52, s24
	ds_add_u64 v0, v[52:53]
	s_trap 2
.LBB2_42:                               ;   in Loop: Header=BB2_21 Depth=1
	s_or_b32 exec_lo, exec_lo, s23
	s_trap 2
	ds_read_b64 v[17:18], v0
	s_waitcnt lgkmcnt(0)
	buffer_gl0_inv
	v_add_co_u32 v2, vcc_lo, v2, v100
	v_add_co_ci_u32_e64 v3, null, 0, v3, vcc_lo
	s_mov_b32 s23, exec_lo
	v_cmpx_lt_u64_e64 v[17:18], v[2:3]
	s_cbranch_execz .LBB2_51
; %bb.43:                               ;   in Loop: Header=BB2_21 Depth=1
	s_mov_b32 s24, 0
	s_mov_b32 s27, 0
                                        ; implicit-def: $sgpr25
                                        ; implicit-def: $sgpr26
	s_inst_prefetch 0x1
	s_branch .LBB2_45
	.p2align	6
.LBB2_44:                               ;   in Loop: Header=BB2_45 Depth=2
	s_or_b32 exec_lo, exec_lo, s29
	s_and_b32 s28, exec_lo, s40
	s_or_b32 s24, s28, s24
	s_andn2_b32 s25, s25, exec_lo
	s_and_b32 s28, s26, exec_lo
	s_or_b32 s25, s25, s28
	s_andn2_b32 exec_lo, exec_lo, s24
	s_cbranch_execz .LBB2_49
.LBB2_45:                               ;   Parent Loop BB2_21 Depth=1
                                        ; =>  This Inner Loop Header: Depth=2
	s_add_i32 s27, s27, 1
	s_cmpk_lg_i32 s27, 0x2710
	s_cselect_b32 s28, -1, 0
	s_and_b32 vcc_lo, exec_lo, s28
	s_cbranch_vccz .LBB2_47
; %bb.46:                               ;   in Loop: Header=BB2_45 Depth=2
	s_mov_b32 s40, -1
	s_or_b32 s26, s26, exec_lo
	s_and_saveexec_b32 s29, s28
	s_cbranch_execz .LBB2_44
	s_branch .LBB2_48
	.p2align	6
.LBB2_47:                               ;   in Loop: Header=BB2_45 Depth=2
	s_trap 2
	ds_read_b64 v[17:18], v0
	s_andn2_b32 s28, s28, exec_lo
	s_mov_b32 s27, 0
	s_waitcnt lgkmcnt(0)
	flat_load_dword v17, v[17:18] glc dlc
	s_waitcnt vmcnt(0) lgkmcnt(0)
	buffer_gl1_inv
	buffer_gl0_inv
	v_cmp_eq_u32_e32 vcc_lo, 0, v17
	s_and_b32 s29, vcc_lo, exec_lo
	s_or_b32 s28, s28, s29
	s_mov_b32 s40, -1
	s_or_b32 s26, s26, exec_lo
	s_and_saveexec_b32 s29, s28
	s_cbranch_execz .LBB2_44
.LBB2_48:                               ;   in Loop: Header=BB2_45 Depth=2
	s_sleep 1
	s_trap 2
	ds_read_b64 v[17:18], v0
	s_waitcnt lgkmcnt(0)
	buffer_gl0_inv
	s_andn2_b32 s26, s26, exec_lo
	v_cmp_ge_u64_e32 vcc_lo, v[17:18], v[2:3]
	s_orn2_b32 s40, vcc_lo, exec_lo
	s_branch .LBB2_44
.LBB2_49:                               ;   in Loop: Header=BB2_21 Depth=1
	s_inst_prefetch 0x2
	s_or_b32 exec_lo, exec_lo, s24
	s_and_saveexec_b32 s24, s25
	s_xor_b32 s24, exec_lo, s24
	s_cbranch_execz .LBB2_51
; %bb.50:                               ;   in Loop: Header=BB2_21 Depth=1
	ds_write_b32 v0, v118
	s_trap 2
.LBB2_51:                               ;   in Loop: Header=BB2_21 Depth=1
	s_or_b32 exec_lo, exec_lo, s23
	;;#ASMSTART
	s_wakeup
	;;#ASMEND
.LBB2_52:                               ;   in Loop: Header=BB2_21 Depth=1
	s_or_b32 exec_lo, exec_lo, s22
.LBB2_53:                               ;   in Loop: Header=BB2_21 Depth=1
	s_andn2_saveexec_b32 s12, s12
	s_cbranch_execz .LBB2_55
; %bb.54:                               ;   in Loop: Header=BB2_21 Depth=1
	s_waitcnt vmcnt(0) lgkmcnt(0)
	s_waitcnt_vscnt null, 0x0
	buffer_gl1_inv
	buffer_gl0_inv
	s_barrier
.LBB2_55:                               ;   in Loop: Header=BB2_21 Depth=1
	s_or_b32 exec_lo, exec_lo, s12
.LBB2_56:                               ;   in Loop: Header=BB2_21 Depth=1
	s_or_b32 exec_lo, exec_lo, s11
	v_sub_nc_u32_e32 v45, v20, v101
	v_and_b32_e32 v71, 7, v21
	v_add_nc_u32_e32 v18, 1, v21
	v_mov_b32_e32 v70, v4
	v_cmp_lt_i32_e64 s11, 0, v45
	s_and_saveexec_b32 s22, s11
	s_cbranch_execz .LBB2_64
; %bb.57:                               ;   in Loop: Header=BB2_21 Depth=1
	s_waitcnt vmcnt(0) lgkmcnt(0)
	v_ashrrev_i32_e32 v17, 31, v19
	v_mul_lo_u32 v82, v71, s18
	v_mad_u64_u32 v[80:81], null, v98, v19, v[5:6]
	v_mul_lo_u32 v20, v99, v19
	v_mul_lo_u32 v17, v98, v17
	v_mov_b32_e32 v85, v45
	v_mov_b32_e32 v70, v4
	s_mov_b32 s23, 0
	v_ashrrev_i32_e32 v83, 31, v82
	v_add3_u32 v81, v20, v81, v17
	v_mul_lo_u32 v17, v98, v19
	v_lshlrev_b64 v[19:20], 4, v[82:83]
	v_add_co_u32 v82, vcc_lo, v116, v19
	v_add_lshl_u32 v84, v5, v17, 3
	v_add_co_ci_u32_e64 v83, null, v117, v20, vcc_lo
	s_inst_prefetch 0x1
	s_branch .LBB2_59
	.p2align	6
.LBB2_58:                               ;   in Loop: Header=BB2_59 Depth=2
	s_or_b32 exec_lo, exec_lo, s12
	s_waitcnt vmcnt(0)
	v_alignbit_b32 v17, v87, v17, v84
	v_alignbit_b32 v19, v86, v87, v84
	v_mov_b32_e32 v20, v18
	v_sub_nc_u32_e32 v85, v85, v102
	v_add_co_u32 v80, vcc_lo, v80, v102
	v_add_co_ci_u32_e64 v81, null, 0, v81, vcc_lo
	global_store_dwordx4 v[82:83], v[17:20], off
	v_cmp_gt_i32_e32 vcc_lo, 1, v85
	v_add_co_u32 v82, s12, v82, v9
	v_add_nc_u32_e32 v70, v70, v1
	v_add_nc_u32_e32 v84, v84, v115
	v_add_co_ci_u32_e64 v83, null, v83, v10, s12
	s_or_b32 s23, vcc_lo, s23
	s_andn2_b32 exec_lo, exec_lo, s23
	s_cbranch_execz .LBB2_63
.LBB2_59:                               ;   Parent Loop BB2_21 Depth=1
                                        ; =>  This Inner Loop Header: Depth=2
	v_and_b32_e32 v19, -4, v80
	v_mov_b32_e32 v20, v81
	v_min_u32_e32 v52, 8, v85
	v_and_b32_e32 v86, 3, v80
	v_mov_b32_e32 v87, 0
	s_mov_b32 s12, exec_lo
	global_load_dword v17, v[19:20], off slc
	v_add_nc_u32_e32 v52, v86, v52
	v_mov_b32_e32 v86, 0
	v_cmpx_lt_u32_e32 4, v52
	s_cbranch_execz .LBB2_61
; %bb.60:                               ;   in Loop: Header=BB2_59 Depth=2
	global_load_dword v87, v[19:20], off offset:4 slc
.LBB2_61:                               ;   in Loop: Header=BB2_59 Depth=2
	s_or_b32 exec_lo, exec_lo, s12
	s_mov_b32 s12, exec_lo
	v_cmpx_lt_u64_e32 8, v[52:53]
	s_cbranch_execz .LBB2_58
; %bb.62:                               ;   in Loop: Header=BB2_59 Depth=2
	global_load_dword v86, v[19:20], off offset:8 slc
	s_branch .LBB2_58
.LBB2_63:                               ;   in Loop: Header=BB2_21 Depth=1
	s_inst_prefetch 0x2
	s_or_b32 exec_lo, exec_lo, s23
.LBB2_64:                               ;   in Loop: Header=BB2_21 Depth=1
	s_or_b32 exec_lo, exec_lo, s22
	v_and_b32_e32 v52, 0x7ffffff8, v21
	v_cmp_gt_i32_e64 s12, s18, v70
	v_cmp_eq_u64_e32 vcc_lo, 0x7ffffff8, v[52:53]
	s_and_b32 s12, vcc_lo, s12
	s_and_saveexec_b32 s22, s12
	s_cbranch_execz .LBB2_67
; %bb.65:                               ;   in Loop: Header=BB2_21 Depth=1
	s_waitcnt vmcnt(0) lgkmcnt(0)
	v_mul_lo_u32 v19, v71, s18
	v_ashrrev_i32_e32 v71, 31, v70
	v_mov_b32_e32 v17, v53
	s_mov_b32 s23, 0
	v_lshlrev_b64 v[80:81], 4, v[70:71]
	v_ashrrev_i32_e32 v20, 31, v19
	v_lshlrev_b64 v[19:20], 4, v[19:20]
	v_add_co_u32 v19, vcc_lo, v80, v19
	v_add_co_ci_u32_e64 v20, null, v81, v20, vcc_lo
	v_add_co_u32 v80, vcc_lo, v36, v19
	v_add_co_ci_u32_e64 v81, null, v37, v20, vcc_lo
.LBB2_66:                               ;   Parent Loop BB2_21 Depth=1
                                        ; =>  This Inner Loop Header: Depth=2
	v_mov_b32_e32 v19, v17
	v_add_nc_u32_e32 v70, v70, v1
	v_mov_b32_e32 v20, v18
	v_cmp_le_i32_e32 vcc_lo, s18, v70
	global_store_dwordx4 v[80:81], v[17:20], off
	v_add_co_u32 v80, s12, v80, v9
	v_add_co_ci_u32_e64 v81, null, v81, v10, s12
	s_or_b32 s23, vcc_lo, s23
	s_andn2_b32 exec_lo, exec_lo, s23
	s_cbranch_execnz .LBB2_66
.LBB2_67:                               ;   in Loop: Header=BB2_21 Depth=1
	s_or_b32 exec_lo, exec_lo, s22
	v_add_co_u32 v47, vcc_lo, v68, v25
	v_add_co_ci_u32_e64 v56, null, v69, v26, vcc_lo
	v_add_co_u32 v70, vcc_lo, v21, 1
	v_add_co_ci_u32_e64 v71, null, 0, v22, vcc_lo
	s_andn2_b32 vcc_lo, exec_lo, s21
	s_cbranch_vccnz .LBB2_501
; %bb.68:                               ;   in Loop: Header=BB2_21 Depth=1
	v_add_co_u32 v80, vcc_lo, v103, v47
	v_add_co_ci_u32_e64 v81, null, v112, v56, vcc_lo
	v_add_nc_u16 v57, v21, 1
	s_mov_b32 s22, 2
	s_branch .LBB2_70
.LBB2_69:                               ;   in Loop: Header=BB2_70 Depth=2
	s_or_b32 exec_lo, exec_lo, s23
	v_add_co_u32 v34, vcc_lo, v34, 1
	v_add_co_ci_u32_e64 v35, null, 0, v35, vcc_lo
	v_add_co_u32 v70, vcc_lo, v70, 1
	v_add_co_ci_u32_e64 v71, null, 0, v71, vcc_lo
	v_add_nc_u16 v57, v57, 1
	s_add_i32 s22, s22, 1
	s_cmp_eq_u32 s22, s14
	s_cbranch_scc1 .LBB2_501
.LBB2_70:                               ;   Parent Loop BB2_21 Depth=1
                                        ; =>  This Loop Header: Depth=2
                                        ;       Child Loop BB2_75 Depth 3
                                        ;       Child Loop BB2_94 Depth 3
	;; [unrolled: 1-line block ×3, first 2 shown]
                                        ;         Child Loop BB2_118 Depth 4
                                        ;       Child Loop BB2_484 Depth 3
                                        ;       Child Loop BB2_493 Depth 3
	s_sub_i32 s12, s14, s22
	s_lshl_b64 s[24:25], s[12:13], 2
	v_add_co_u32 v17, vcc_lo, v23, s24
	v_add_co_ci_u32_e64 v18, null, s25, v24, vcc_lo
	s_waitcnt vmcnt(0) lgkmcnt(0)
	flat_load_dword v19, v[17:18]
	s_and_saveexec_b32 s23, s5
	s_cbranch_execz .LBB2_86
; %bb.71:                               ;   in Loop: Header=BB2_70 Depth=2
	v_add_co_u32 v17, vcc_lo, v15, 1
	v_add_co_ci_u32_e64 v18, null, 0, v16, vcc_lo
	v_add_co_u32 v20, vcc_lo, v54, 8
	v_add_co_ci_u32_e64 v21, null, 0, v55, vcc_lo
	s_mov_b32 s24, exec_lo
	v_cmpx_lt_u64_e64 v[20:21], v[17:18]
	s_cbranch_execz .LBB2_83
; %bb.72:                               ;   in Loop: Header=BB2_70 Depth=2
	s_mov_b32 s25, 0
	s_mov_b32 s29, 0
	v_cmp_eq_u32_e32 vcc_lo, 0, v44
                                        ; implicit-def: $sgpr26
                                        ; implicit-def: $sgpr27
                                        ; implicit-def: $sgpr28
	s_branch .LBB2_75
.LBB2_73:                               ;   in Loop: Header=BB2_75 Depth=3
	s_or_b32 exec_lo, exec_lo, s44
	s_andn2_b32 s12, s28, exec_lo
	s_and_b32 s28, s42, exec_lo
	s_andn2_b32 s27, s27, exec_lo
	s_and_b32 s41, s41, exec_lo
	s_or_b32 s28, s12, s28
	s_or_b32 s27, s27, s41
.LBB2_74:                               ;   in Loop: Header=BB2_75 Depth=3
	s_or_b32 exec_lo, exec_lo, s40
	s_and_b32 s12, exec_lo, s27
	s_or_b32 s25, s12, s25
	s_andn2_b32 s12, s26, exec_lo
	s_and_b32 s26, s28, exec_lo
	s_or_b32 s26, s12, s26
	s_andn2_b32 exec_lo, exec_lo, s25
	s_cbranch_execz .LBB2_80
.LBB2_75:                               ;   Parent Loop BB2_21 Depth=1
                                        ;     Parent Loop BB2_70 Depth=2
                                        ; =>    This Inner Loop Header: Depth=3
	s_sleep 1
	s_waitcnt vmcnt(0) lgkmcnt(0)
	flat_load_dwordx2 v[54:55], v[50:51] glc dlc
	v_mov_b32_e32 v44, 1
	s_or_b32 s28, s28, exec_lo
	s_or_b32 s27, s27, exec_lo
                                        ; implicit-def: $vgpr16
	s_and_saveexec_b32 s40, vcc_lo
	s_cbranch_execz .LBB2_74
; %bb.76:                               ;   in Loop: Header=BB2_75 Depth=3
	s_add_i32 s29, s29, 1
	s_mov_b32 s41, -1
	s_cmpk_lg_i32 s29, 0x2710
	s_mov_b32 s42, -1
	s_cselect_b32 s43, -1, 0
	s_cmpk_eq_i32 s29, 0x2710
                                        ; implicit-def: $vgpr16
	s_cbranch_scc1 .LBB2_78
; %bb.77:                               ;   in Loop: Header=BB2_75 Depth=3
	v_mov_b32_e32 v44, 1
	s_and_saveexec_b32 s44, s43
	s_cbranch_execz .LBB2_73
	s_branch .LBB2_79
.LBB2_78:                               ;   in Loop: Header=BB2_75 Depth=3
	s_trap 2
	ds_read_b64 v[20:21], v0
	s_andn2_b32 s29, s43, exec_lo
	s_mov_b32 s42, 0
	s_waitcnt vmcnt(0) lgkmcnt(0)
	s_waitcnt_vscnt null, 0x0
	flat_load_dword v16, v[20:21] glc dlc
	s_waitcnt vmcnt(0) lgkmcnt(0)
	buffer_gl1_inv
	buffer_gl0_inv
	v_cmp_eq_u32_e64 s12, 0, v16
	s_and_b32 s12, s12, exec_lo
	s_or_b32 s43, s29, s12
	s_mov_b32 s29, 0
	v_mov_b32_e32 v44, 1
	s_and_saveexec_b32 s44, s43
	s_cbranch_execz .LBB2_73
.LBB2_79:                               ;   in Loop: Header=BB2_75 Depth=3
	s_waitcnt vmcnt(0) lgkmcnt(0)
	v_add_co_u32 v20, s12, v54, 8
	v_add_co_ci_u32_e64 v21, null, 0, v55, s12
	v_mov_b32_e32 v44, 0
	s_or_b32 s42, s42, exec_lo
	v_cmp_ge_u64_e64 s12, v[20:21], v[17:18]
	s_orn2_b32 s41, s12, exec_lo
	s_branch .LBB2_73
.LBB2_80:                               ;   in Loop: Header=BB2_70 Depth=2
	s_or_b32 exec_lo, exec_lo, s25
	s_xor_b32 s12, s26, -1
	s_and_saveexec_b32 s25, s12
	s_xor_b32 s12, exec_lo, s25
	s_cbranch_execz .LBB2_82
; %bb.81:                               ;   in Loop: Header=BB2_70 Depth=2
	v_mov_b32_e32 v44, 1
	s_waitcnt vmcnt(0) lgkmcnt(0)
	s_waitcnt_vscnt null, 0x0
	ds_write_b32 v0, v16
	s_trap 2
.LBB2_82:                               ;   in Loop: Header=BB2_70 Depth=2
	s_or_b32 exec_lo, exec_lo, s12
.LBB2_83:                               ;   in Loop: Header=BB2_70 Depth=2
	s_or_b32 exec_lo, exec_lo, s24
	s_and_saveexec_b32 s12, s6
	s_cbranch_execz .LBB2_85
; %bb.84:                               ;   in Loop: Header=BB2_70 Depth=2
	v_and_b32_e32 v52, 0x7ffffff8, v15
	v_and_b32_e32 v16, 7, v15
	v_cmp_eq_u64_e32 vcc_lo, 0x7ffffff8, v[52:53]
	v_mad_u64_u32 v[20:21], null, v16, 24, v[13:14]
	v_cndmask_b32_e64 v15, v46, s15, vcc_lo
	v_ashrrev_i32_e32 v16, 31, v15
	flat_store_dwordx2 v[20:21], v[15:16] offset:8
	s_waitcnt_vscnt null, 0x0
.LBB2_85:                               ;   in Loop: Header=BB2_70 Depth=2
	s_or_b32 exec_lo, exec_lo, s12
	v_mov_b32_e32 v15, v17
	v_mov_b32_e32 v16, v18
.LBB2_86:                               ;   in Loop: Header=BB2_70 Depth=2
	s_or_b32 exec_lo, exec_lo, s23
	s_and_saveexec_b32 s12, s7
	s_cbranch_execz .LBB2_105
; %bb.87:                               ;   in Loop: Header=BB2_70 Depth=2
	s_and_saveexec_b32 s23, s19
	s_xor_b32 s23, exec_lo, s23
	s_cbranch_execz .LBB2_102
; %bb.88:                               ;   in Loop: Header=BB2_70 Depth=2
	s_and_saveexec_b32 s24, s8
	s_cbranch_execz .LBB2_101
; %bb.89:                               ;   in Loop: Header=BB2_70 Depth=2
	s_mov_b32 s26, exec_lo
	s_mov_b32 s25, exec_lo
	v_mbcnt_lo_u32_b32 v17, s26, 0
	s_waitcnt vmcnt(0) lgkmcnt(0)
	s_waitcnt_vscnt null, 0x0
	buffer_gl1_inv
	buffer_gl0_inv
	v_cmpx_eq_u32_e32 0, v17
	s_cbranch_execz .LBB2_91
; %bb.90:                               ;   in Loop: Header=BB2_70 Depth=2
	s_bcnt1_i32_b32 s26, s26
	v_mov_b32_e32 v52, s26
	ds_add_u64 v0, v[52:53]
	s_trap 2
.LBB2_91:                               ;   in Loop: Header=BB2_70 Depth=2
	s_or_b32 exec_lo, exec_lo, s25
	s_trap 2
	ds_read_b64 v[17:18], v0
	s_waitcnt lgkmcnt(0)
	buffer_gl0_inv
	v_add_co_u32 v2, vcc_lo, v2, v100
	v_add_co_ci_u32_e64 v3, null, 0, v3, vcc_lo
	s_mov_b32 s25, exec_lo
	v_cmpx_lt_u64_e64 v[17:18], v[2:3]
	s_cbranch_execz .LBB2_100
; %bb.92:                               ;   in Loop: Header=BB2_70 Depth=2
	s_mov_b32 s26, 0
	s_mov_b32 s29, 0
                                        ; implicit-def: $sgpr27
                                        ; implicit-def: $sgpr28
	s_inst_prefetch 0x1
	s_branch .LBB2_94
	.p2align	6
.LBB2_93:                               ;   in Loop: Header=BB2_94 Depth=3
	s_or_b32 exec_lo, exec_lo, s41
	s_and_b32 s40, exec_lo, s42
	s_or_b32 s26, s40, s26
	s_andn2_b32 s27, s27, exec_lo
	s_and_b32 s40, s28, exec_lo
	s_or_b32 s27, s27, s40
	s_andn2_b32 exec_lo, exec_lo, s26
	s_cbranch_execz .LBB2_98
.LBB2_94:                               ;   Parent Loop BB2_21 Depth=1
                                        ;     Parent Loop BB2_70 Depth=2
                                        ; =>    This Inner Loop Header: Depth=3
	s_add_i32 s29, s29, 1
	s_cmpk_lg_i32 s29, 0x2710
	s_cselect_b32 s40, -1, 0
	s_and_b32 vcc_lo, exec_lo, s40
	s_cbranch_vccz .LBB2_96
; %bb.95:                               ;   in Loop: Header=BB2_94 Depth=3
	s_mov_b32 s42, -1
	s_or_b32 s28, s28, exec_lo
	s_and_saveexec_b32 s41, s40
	s_cbranch_execz .LBB2_93
	s_branch .LBB2_97
	.p2align	6
.LBB2_96:                               ;   in Loop: Header=BB2_94 Depth=3
	s_trap 2
	ds_read_b64 v[17:18], v0
	s_andn2_b32 s40, s40, exec_lo
	s_mov_b32 s29, 0
	s_waitcnt lgkmcnt(0)
	flat_load_dword v17, v[17:18] glc dlc
	s_waitcnt vmcnt(0) lgkmcnt(0)
	buffer_gl1_inv
	buffer_gl0_inv
	v_cmp_eq_u32_e32 vcc_lo, 0, v17
	s_and_b32 s41, vcc_lo, exec_lo
	s_or_b32 s40, s40, s41
	s_mov_b32 s42, -1
	s_or_b32 s28, s28, exec_lo
	s_and_saveexec_b32 s41, s40
	s_cbranch_execz .LBB2_93
.LBB2_97:                               ;   in Loop: Header=BB2_94 Depth=3
	s_sleep 1
	s_trap 2
	ds_read_b64 v[17:18], v0
	s_waitcnt lgkmcnt(0)
	buffer_gl0_inv
	s_andn2_b32 s28, s28, exec_lo
	v_cmp_ge_u64_e32 vcc_lo, v[17:18], v[2:3]
	s_orn2_b32 s42, vcc_lo, exec_lo
	s_branch .LBB2_93
.LBB2_98:                               ;   in Loop: Header=BB2_70 Depth=2
	s_inst_prefetch 0x2
	s_or_b32 exec_lo, exec_lo, s26
	s_and_saveexec_b32 s26, s27
	s_xor_b32 s26, exec_lo, s26
	s_cbranch_execz .LBB2_100
; %bb.99:                               ;   in Loop: Header=BB2_70 Depth=2
	ds_write_b32 v0, v118
	s_trap 2
.LBB2_100:                              ;   in Loop: Header=BB2_70 Depth=2
	s_or_b32 exec_lo, exec_lo, s25
	;;#ASMSTART
	s_wakeup
	;;#ASMEND
.LBB2_101:                              ;   in Loop: Header=BB2_70 Depth=2
	s_or_b32 exec_lo, exec_lo, s24
.LBB2_102:                              ;   in Loop: Header=BB2_70 Depth=2
	s_andn2_saveexec_b32 s23, s23
	s_cbranch_execz .LBB2_104
; %bb.103:                              ;   in Loop: Header=BB2_70 Depth=2
	s_waitcnt vmcnt(0) lgkmcnt(0)
	s_waitcnt_vscnt null, 0x0
	buffer_gl1_inv
	buffer_gl0_inv
	s_barrier
.LBB2_104:                              ;   in Loop: Header=BB2_70 Depth=2
	s_or_b32 exec_lo, exec_lo, s23
.LBB2_105:                              ;   in Loop: Header=BB2_70 Depth=2
	s_or_b32 exec_lo, exec_lo, s12
	v_add_nc_u32_e32 v18, 1, v70
	v_mov_b32_e32 v82, v4
	s_and_saveexec_b32 s23, s11
	s_cbranch_execz .LBB2_476
; %bb.106:                              ;   in Loop: Header=BB2_70 Depth=2
	v_and_b32_e32 v17, 7, v34
	v_and_b32_e32 v21, 7, v70
	s_waitcnt vmcnt(0) lgkmcnt(0)
	v_mad_u64_u32 v[84:85], null, v98, v19, v[80:81]
	v_mul_lo_u32 v22, v99, v19
	v_mul_lo_u32 v20, v17, s18
	v_ashrrev_i32_e32 v17, 31, v19
	v_mul_lo_u32 v82, v21, s18
	v_add_nc_u32_e32 v58, 1, v34
	v_mov_b32_e32 v59, v45
	s_mov_b32 s24, 0
	v_mul_lo_u32 v17, v98, v17
	v_ashrrev_i32_e32 v21, 31, v20
	v_ashrrev_i32_e32 v83, 31, v82
	v_lshlrev_b64 v[19:20], 4, v[20:21]
	v_add3_u32 v85, v22, v85, v17
	v_lshlrev_b64 v[21:22], 4, v[82:83]
	v_mov_b32_e32 v82, v4
	v_add_co_u32 v60, vcc_lo, v32, v19
	v_add_co_ci_u32_e64 v61, null, v33, v20, vcc_lo
	v_add_co_u32 v62, vcc_lo, v36, v21
	v_add_co_ci_u32_e64 v63, null, v37, v22, vcc_lo
	s_branch .LBB2_110
.LBB2_107:                              ;   in Loop: Header=BB2_110 Depth=3
	s_or_b32 exec_lo, exec_lo, s12
	v_lshrrev_b32_e32 v22, 21, v22
	v_min_i32_e32 v83, 31, v21
	v_cmp_gt_i32_e32 vcc_lo, 32, v21
	v_and_b32_sdwa v73, v73, v40 dst_sel:DWORD dst_unused:UNUSED_PAD src0_sel:BYTE_3 src1_sel:DWORD
	v_lshlrev_b32_e32 v83, 2, v83
	v_cndmask_b32_e32 v22, 3, v22, vcc_lo
	v_and_b32_e32 v83, 0xfc, v83
	v_and_b32_e32 v74, 3, v22
	v_or_b32_e32 v21, v21, v22
	v_or3_b32 v83, v73, v83, v74
	v_cmp_ne_u32_e32 vcc_lo, 0, v21
	v_lshlrev_b32_e32 v22, 8, v83
	v_cndmask_b32_e32 v21, 0, v22, vcc_lo
.LBB2_108:                              ;   in Loop: Header=BB2_110 Depth=3
	s_or_b32 exec_lo, exec_lo, s26
.LBB2_109:                              ;   in Loop: Header=BB2_110 Depth=3
	s_or_b32 exec_lo, exec_lo, s25
	v_sub_nc_u32_e32 v59, v59, v102
	v_add_co_u32 v84, vcc_lo, v84, v102
	v_or_b32_e32 v17, v20, v17
	v_or_b32_sdwa v19, v19, v52 dst_sel:WORD_1 dst_unused:UNUSED_PAD src0_sel:DWORD src1_sel:DWORD
	v_or_b32_e32 v20, v97, v96
	v_or_b32_sdwa v52, v21, v72 dst_sel:WORD_1 dst_unused:UNUSED_PAD src0_sel:DWORD src1_sel:DWORD
	v_add_co_ci_u32_e64 v85, null, 0, v85, vcc_lo
	v_add_co_u32 v21, vcc_lo, v62, v86
	v_add_co_ci_u32_e64 v22, null, v63, v87, vcc_lo
	v_cmp_gt_i32_e32 vcc_lo, 1, v59
	v_or3_b32 v17, v17, v19, 0
	v_or3_b32 v19, v20, v52, 0
	v_mov_b32_e32 v20, v18
	v_add_nc_u32_e32 v82, v82, v1
	s_or_b32 s24, vcc_lo, s24
	global_store_dwordx4 v[21:22], v[17:20], off
	s_andn2_b32 exec_lo, exec_lo, s24
	s_cbranch_execz .LBB2_488
.LBB2_110:                              ;   Parent Loop BB2_21 Depth=1
                                        ;     Parent Loop BB2_70 Depth=2
                                        ; =>    This Loop Header: Depth=3
                                        ;         Child Loop BB2_118 Depth 4
	v_and_b32_e32 v19, -4, v84
	v_mov_b32_e32 v20, v85
	v_min_u32_e32 v21, 8, v59
	v_and_b32_e32 v22, 3, v84
	v_mov_b32_e32 v72, 0
	v_mov_b32_e32 v73, 0
	global_load_dword v17, v[19:20], off slc
	s_mov_b32 s12, exec_lo
	v_add_nc_u32_e32 v52, v22, v21
	v_cmpx_lt_u32_e32 4, v52
	s_cbranch_execz .LBB2_112
; %bb.111:                              ;   in Loop: Header=BB2_110 Depth=3
	global_load_dword v73, v[19:20], off offset:4 slc
.LBB2_112:                              ;   in Loop: Header=BB2_110 Depth=3
	s_or_b32 exec_lo, exec_lo, s12
	s_mov_b32 s12, exec_lo
	v_cmpx_lt_u64_e32 8, v[52:53]
	s_cbranch_execz .LBB2_114
; %bb.113:                              ;   in Loop: Header=BB2_110 Depth=3
	global_load_dword v72, v[19:20], off offset:8 slc
.LBB2_114:                              ;   in Loop: Header=BB2_110 Depth=3
	s_or_b32 exec_lo, exec_lo, s12
	v_mov_b32_e32 v83, v53
	v_lshlrev_b64 v[86:87], 4, v[82:83]
	v_add_co_u32 v96, vcc_lo, v60, v86
	v_add_co_ci_u32_e64 v97, null, v61, v87, vcc_lo
	v_cmp_eq_u32_e32 vcc_lo, 0, v44
	v_mov_b32_e32 v44, 1
	global_load_dwordx4 v[19:22], v[96:97], off slc
	s_and_saveexec_b32 s25, vcc_lo
	s_cbranch_execz .LBB2_126
; %bb.115:                              ;   in Loop: Header=BB2_110 Depth=3
	s_waitcnt vmcnt(0)
	v_cmp_ne_u32_e32 vcc_lo, v58, v20
	v_cmp_ne_u32_e64 s12, v58, v22
	v_mov_b32_e32 v44, 0
	s_or_b32 s12, vcc_lo, s12
	s_and_saveexec_b32 s26, s12
	s_cbranch_execz .LBB2_125
; %bb.116:                              ;   in Loop: Header=BB2_110 Depth=3
	s_mov_b32 s40, 1
	s_mov_b32 s28, 0
                                        ; implicit-def: $sgpr27
                                        ; implicit-def: $sgpr29
	s_inst_prefetch 0x1
	s_branch .LBB2_118
	.p2align	6
.LBB2_117:                              ;   in Loop: Header=BB2_118 Depth=4
	s_or_b32 exec_lo, exec_lo, s42
	s_and_b32 s12, exec_lo, s12
	s_or_b32 s28, s12, s28
	s_andn2_b32 s12, s27, exec_lo
	s_and_b32 s27, s29, exec_lo
	s_or_b32 s27, s12, s27
	s_andn2_b32 exec_lo, exec_lo, s28
	s_cbranch_execz .LBB2_122
.LBB2_118:                              ;   Parent Loop BB2_21 Depth=1
                                        ;     Parent Loop BB2_70 Depth=2
                                        ;       Parent Loop BB2_110 Depth=3
                                        ; =>      This Inner Loop Header: Depth=4
	global_load_dwordx4 v[19:22], v[96:97], off slc
	s_add_i32 s40, s40, 1
	s_mov_b32 s12, -1
	s_cmpk_lg_i32 s40, 0x2710
	s_mov_b32 s41, -1
                                        ; implicit-def: $vgpr52
	s_cbranch_scc0 .LBB2_120
; %bb.119:                              ;   in Loop: Header=BB2_118 Depth=4
	s_or_b32 s29, s29, exec_lo
	s_and_saveexec_b32 s42, s41
	s_cbranch_execz .LBB2_117
	s_branch .LBB2_121
	.p2align	6
.LBB2_120:                              ;   in Loop: Header=BB2_118 Depth=4
	s_trap 2
	ds_read_b64 v[74:75], v0
	s_mov_b32 s40, 0
	s_waitcnt vmcnt(0) lgkmcnt(0)
	s_waitcnt_vscnt null, 0x0
	flat_load_dword v52, v[74:75] glc dlc
	s_waitcnt vmcnt(0) lgkmcnt(0)
	buffer_gl1_inv
	buffer_gl0_inv
	v_cmp_eq_u32_e32 vcc_lo, 0, v52
	s_orn2_b32 s41, vcc_lo, exec_lo
	s_or_b32 s29, s29, exec_lo
	s_and_saveexec_b32 s42, s41
	s_cbranch_execz .LBB2_117
.LBB2_121:                              ;   in Loop: Header=BB2_118 Depth=4
	s_waitcnt vmcnt(0)
	v_cmp_eq_u32_e32 vcc_lo, v58, v20
	v_cmp_eq_u32_e64 s12, v58, v22
	s_andn2_b32 s29, s29, exec_lo
	s_and_b32 s12, vcc_lo, s12
	s_orn2_b32 s12, s12, exec_lo
	s_branch .LBB2_117
.LBB2_122:                              ;   in Loop: Header=BB2_110 Depth=3
	s_inst_prefetch 0x2
	s_or_b32 exec_lo, exec_lo, s28
	v_mov_b32_e32 v44, 0
	s_and_saveexec_b32 s12, s27
	s_xor_b32 s12, exec_lo, s12
	s_cbranch_execz .LBB2_124
; %bb.123:                              ;   in Loop: Header=BB2_110 Depth=3
	v_mov_b32_e32 v44, 1
	s_waitcnt vmcnt(0)
	s_waitcnt_vscnt null, 0x0
	ds_write_b32 v0, v52
	s_trap 2
.LBB2_124:                              ;   in Loop: Header=BB2_110 Depth=3
	s_or_b32 exec_lo, exec_lo, s12
.LBB2_125:                              ;   in Loop: Header=BB2_110 Depth=3
	s_or_b32 exec_lo, exec_lo, s26
.LBB2_126:                              ;   in Loop: Header=BB2_110 Depth=3
	s_or_b32 exec_lo, exec_lo, s25
	s_waitcnt vmcnt(0)
	v_lshlrev_b32_e32 v22, 3, v84
                                        ; implicit-def: $vgpr20
	v_alignbit_b32 v83, v73, v17, v22
	s_and_saveexec_b32 s12, s9
	s_xor_b32 s12, exec_lo, s12
	s_cbranch_execz .LBB2_140
; %bb.127:                              ;   in Loop: Header=BB2_110 Depth=3
	v_cmp_gt_i16_sdwa s26, v19, v119 src0_sel:BYTE_0 src1_sel:DWORD
	s_mov_b32 s25, 0
	s_and_saveexec_b32 s27, s26
	s_xor_b32 s26, exec_lo, s27
	s_cbranch_execz .LBB2_412
; %bb.128:                              ;   in Loop: Header=BB2_110 Depth=3
	v_cmp_eq_u16_sdwa s28, v19, v40 src0_sel:BYTE_0 src1_sel:DWORD
	s_mov_b32 s25, -1
	s_and_saveexec_b32 s27, s28
; %bb.129:                              ;   in Loop: Header=BB2_110 Depth=3
	s_xor_b32 s25, exec_lo, -1
; %bb.130:                              ;   in Loop: Header=BB2_110 Depth=3
	s_or_b32 exec_lo, exec_lo, s27
	s_and_b32 s25, s25, exec_lo
	s_or_saveexec_b32 s26, s26
	v_mov_b32_e32 v17, 0x7f800001
	s_xor_b32 exec_lo, exec_lo, s26
	s_cbranch_execnz .LBB2_413
.LBB2_131:                              ;   in Loop: Header=BB2_110 Depth=3
	s_or_b32 exec_lo, exec_lo, s26
	s_and_saveexec_b32 s26, s25
	s_cbranch_execz .LBB2_133
.LBB2_132:                              ;   in Loop: Header=BB2_110 Depth=3
	v_and_b32_e32 v17, 3, v19
	v_bfe_u32 v96, v19, 2, 5
	v_lshlrev_b32_e32 v97, 24, v19
	v_ffbh_u32_e32 v20, v17
	v_cmp_eq_u32_e32 vcc_lo, 0, v96
	v_min_u32_e32 v20, 32, v20
	v_subrev_nc_u32_e32 v52, 29, v20
	v_sub_nc_u32_e32 v20, 30, v20
	v_lshlrev_b32_e32 v52, v52, v19
	v_cndmask_b32_e32 v20, v96, v20, vcc_lo
	v_and_b32_e32 v52, 3, v52
	v_lshl_add_u32 v20, v20, 23, 0x37800000
	v_cndmask_b32_e32 v17, v17, v52, vcc_lo
	v_and_b32_e32 v52, 0x80000000, v97
	v_lshlrev_b32_e32 v17, 21, v17
	v_or3_b32 v17, v52, v20, v17
.LBB2_133:                              ;   in Loop: Header=BB2_110 Depth=3
	s_or_b32 exec_lo, exec_lo, s26
	v_cmp_gt_i16_sdwa s26, v83, v119 src0_sel:BYTE_0 src1_sel:DWORD
	s_mov_b32 s25, 0
	s_and_saveexec_b32 s27, s26
	s_xor_b32 s26, exec_lo, s27
	s_cbranch_execz .LBB2_414
; %bb.134:                              ;   in Loop: Header=BB2_110 Depth=3
	v_cmp_eq_u16_sdwa s28, v83, v40 src0_sel:BYTE_0 src1_sel:DWORD
	s_mov_b32 s25, -1
	s_and_saveexec_b32 s27, s28
; %bb.135:                              ;   in Loop: Header=BB2_110 Depth=3
	s_xor_b32 s25, exec_lo, -1
; %bb.136:                              ;   in Loop: Header=BB2_110 Depth=3
	s_or_b32 exec_lo, exec_lo, s27
	s_and_b32 s25, s25, exec_lo
	s_or_saveexec_b32 s26, s26
	v_mov_b32_e32 v20, 0x7f800001
	s_xor_b32 exec_lo, exec_lo, s26
	s_cbranch_execnz .LBB2_415
.LBB2_137:                              ;   in Loop: Header=BB2_110 Depth=3
	s_or_b32 exec_lo, exec_lo, s26
	s_and_saveexec_b32 s26, s25
	s_cbranch_execz .LBB2_139
.LBB2_138:                              ;   in Loop: Header=BB2_110 Depth=3
	v_and_b32_e32 v20, 3, v83
	v_bfe_u32 v97, v83, 2, 5
	v_lshlrev_b32_e32 v74, 24, v83
	v_ffbh_u32_e32 v52, v20
	v_cmp_eq_u32_e32 vcc_lo, 0, v97
	v_min_u32_e32 v52, 32, v52
	v_subrev_nc_u32_e32 v96, 29, v52
	v_sub_nc_u32_e32 v52, 30, v52
	v_lshlrev_b32_e32 v96, v96, v83
	v_cndmask_b32_e32 v52, v97, v52, vcc_lo
	v_and_b32_e32 v96, 3, v96
	v_lshl_add_u32 v52, v52, 23, 0x37800000
	v_cndmask_b32_e32 v20, v20, v96, vcc_lo
	v_and_b32_e32 v96, 0x80000000, v74
	v_lshlrev_b32_e32 v20, 21, v20
	v_or3_b32 v20, v96, v52, v20
.LBB2_139:                              ;   in Loop: Header=BB2_110 Depth=3
	s_or_b32 exec_lo, exec_lo, s26
	v_max_f32_e32 v20, v20, v20
	v_max_f32_e32 v17, v17, v17
	;; [unrolled: 1-line block ×3, first 2 shown]
.LBB2_140:                              ;   in Loop: Header=BB2_110 Depth=3
	s_andn2_saveexec_b32 s12, s12
	s_cbranch_execz .LBB2_154
; %bb.141:                              ;   in Loop: Header=BB2_110 Depth=3
	v_cmp_gt_i16_sdwa s26, v19, v119 src0_sel:BYTE_0 src1_sel:DWORD
	s_mov_b32 s25, 0
	s_and_saveexec_b32 s27, s26
	s_xor_b32 s26, exec_lo, s27
	s_cbranch_execz .LBB2_416
; %bb.142:                              ;   in Loop: Header=BB2_110 Depth=3
	v_cmp_eq_u16_sdwa s28, v19, v40 src0_sel:BYTE_0 src1_sel:DWORD
	s_mov_b32 s25, -1
	s_and_saveexec_b32 s27, s28
; %bb.143:                              ;   in Loop: Header=BB2_110 Depth=3
	s_xor_b32 s25, exec_lo, -1
; %bb.144:                              ;   in Loop: Header=BB2_110 Depth=3
	s_or_b32 exec_lo, exec_lo, s27
	s_and_b32 s25, s25, exec_lo
	s_or_saveexec_b32 s26, s26
	v_mov_b32_e32 v17, 0x7f800001
	s_xor_b32 exec_lo, exec_lo, s26
	s_cbranch_execnz .LBB2_417
.LBB2_145:                              ;   in Loop: Header=BB2_110 Depth=3
	s_or_b32 exec_lo, exec_lo, s26
	s_and_saveexec_b32 s26, s25
	s_cbranch_execz .LBB2_147
.LBB2_146:                              ;   in Loop: Header=BB2_110 Depth=3
	v_and_b32_e32 v17, 3, v19
	v_bfe_u32 v96, v19, 2, 5
	v_lshlrev_b32_e32 v97, 24, v19
	v_ffbh_u32_e32 v20, v17
	v_cmp_eq_u32_e32 vcc_lo, 0, v96
	v_min_u32_e32 v20, 32, v20
	v_subrev_nc_u32_e32 v52, 29, v20
	v_sub_nc_u32_e32 v20, 30, v20
	v_lshlrev_b32_e32 v52, v52, v19
	v_cndmask_b32_e32 v20, v96, v20, vcc_lo
	v_and_b32_e32 v52, 3, v52
	v_lshl_add_u32 v20, v20, 23, 0x37800000
	v_cndmask_b32_e32 v17, v17, v52, vcc_lo
	v_and_b32_e32 v52, 0x80000000, v97
	v_lshlrev_b32_e32 v17, 21, v17
	v_or3_b32 v17, v52, v20, v17
.LBB2_147:                              ;   in Loop: Header=BB2_110 Depth=3
	s_or_b32 exec_lo, exec_lo, s26
	v_cmp_gt_i16_sdwa s26, v83, v119 src0_sel:BYTE_0 src1_sel:DWORD
	s_mov_b32 s25, 0
	s_and_saveexec_b32 s27, s26
	s_xor_b32 s26, exec_lo, s27
	s_cbranch_execz .LBB2_418
; %bb.148:                              ;   in Loop: Header=BB2_110 Depth=3
	v_cmp_eq_u16_sdwa s28, v83, v40 src0_sel:BYTE_0 src1_sel:DWORD
	s_mov_b32 s25, -1
	s_and_saveexec_b32 s27, s28
; %bb.149:                              ;   in Loop: Header=BB2_110 Depth=3
	s_xor_b32 s25, exec_lo, -1
; %bb.150:                              ;   in Loop: Header=BB2_110 Depth=3
	s_or_b32 exec_lo, exec_lo, s27
	s_and_b32 s25, s25, exec_lo
	s_or_saveexec_b32 s26, s26
	v_mov_b32_e32 v20, 0x7f800001
	s_xor_b32 exec_lo, exec_lo, s26
	s_cbranch_execnz .LBB2_419
.LBB2_151:                              ;   in Loop: Header=BB2_110 Depth=3
	s_or_b32 exec_lo, exec_lo, s26
	s_and_saveexec_b32 s26, s25
	s_cbranch_execz .LBB2_153
.LBB2_152:                              ;   in Loop: Header=BB2_110 Depth=3
	v_and_b32_e32 v20, 3, v83
	v_bfe_u32 v97, v83, 2, 5
	v_lshlrev_b32_e32 v74, 24, v83
	v_ffbh_u32_e32 v52, v20
	v_cmp_eq_u32_e32 vcc_lo, 0, v97
	v_min_u32_e32 v52, 32, v52
	v_subrev_nc_u32_e32 v96, 29, v52
	v_sub_nc_u32_e32 v52, 30, v52
	v_lshlrev_b32_e32 v96, v96, v83
	v_cndmask_b32_e32 v52, v97, v52, vcc_lo
	v_and_b32_e32 v96, 3, v96
	v_lshl_add_u32 v52, v52, 23, 0x37800000
	v_cndmask_b32_e32 v20, v20, v96, vcc_lo
	v_and_b32_e32 v96, 0x80000000, v74
	v_lshlrev_b32_e32 v20, 21, v20
	v_or3_b32 v20, v96, v52, v20
.LBB2_153:                              ;   in Loop: Header=BB2_110 Depth=3
	s_or_b32 exec_lo, exec_lo, s26
	v_max_f32_e32 v20, v20, v20
	v_max_f32_e32 v17, v17, v17
	v_min_f32_e32 v20, v17, v20
.LBB2_154:                              ;   in Loop: Header=BB2_110 Depth=3
	s_or_b32 exec_lo, exec_lo, s12
	v_and_b32_e32 v17, 0x7f800000, v20
	v_cmp_ne_u32_e32 vcc_lo, 0x7f800000, v17
	v_mov_b32_e32 v17, 0x80
	s_and_saveexec_b32 s25, vcc_lo
	s_cbranch_execz .LBB2_162
; %bb.155:                              ;   in Loop: Header=BB2_110 Depth=3
	v_mov_b32_e32 v17, 0
	s_mov_b32 s26, exec_lo
	v_cmpx_ne_u32_e32 0, v20
	s_cbranch_execz .LBB2_161
; %bb.156:                              ;   in Loop: Header=BB2_110 Depth=3
	v_bfe_u32 v17, v20, 23, 8
	v_and_b32_e32 v52, 0x7fffff, v20
	v_sub_nc_u32_e32 v96, 0x70, v17
	v_cmp_gt_u32_e32 vcc_lo, 0x71, v17
	v_or_b32_e32 v97, 0x800000, v52
	v_cndmask_b32_e32 v96, 0, v96, vcc_lo
	v_cmp_eq_u32_e32 vcc_lo, 0, v17
	v_add_nc_u32_e32 v17, 0xffffff91, v17
	v_cndmask_b32_e64 v96, v96, 0x6f, vcc_lo
	v_cndmask_b32_e32 v52, v97, v52, vcc_lo
	v_cndmask_b32_e64 v17, v17, 0xffffff92, vcc_lo
	v_lshl_add_u32 v97, 0x200000, v96, -1
	v_lshrrev_b32_e32 v74, v96, v52
	v_lshlrev_b32_e64 v76, v96, 0x100000
	v_add_nc_u32_e32 v96, v96, v17
	v_and_b32_e32 v52, v97, v52
	v_bfe_u32 v75, v74, 21, 1
	v_cmp_eq_u32_e64 s12, v52, v76
	v_add_nc_u32_e32 v97, -1, v75
	v_cndmask_b32_e64 v52, 0, v97, s12
	v_lshrrev_b32_e32 v97, 23, v74
	s_mov_b32 s12, exec_lo
	v_add_nc_u32_e32 v52, v52, v74
	v_xor_b32_e32 v97, 1, v97
	v_and_b32_e32 v17, 0x1fffff, v52
	v_add_nc_u32_e32 v52, v17, v74
                                        ; implicit-def: $vgpr17
	v_cmpx_ne_u32_e64 v96, v97
	s_xor_b32 s12, exec_lo, s12
; %bb.157:                              ;   in Loop: Header=BB2_110 Depth=3
	v_cmp_lt_u32_e32 vcc_lo, 0xffffff, v52
	v_sub_nc_u32_e32 v17, v96, v97
	v_cndmask_b32_e64 v96, 0, 1, vcc_lo
	v_add_co_ci_u32_e64 v17, null, 0, v17, vcc_lo
	v_lshrrev_b32_e32 v52, v96, v52
; %bb.158:                              ;   in Loop: Header=BB2_110 Depth=3
	s_andn2_saveexec_b32 s12, s12
; %bb.159:                              ;   in Loop: Header=BB2_110 Depth=3
	v_bfe_u32 v17, v52, 23, 1
; %bb.160:                              ;   in Loop: Header=BB2_110 Depth=3
	s_or_b32 exec_lo, exec_lo, s12
	v_lshrrev_b32_e32 v52, 21, v52
	v_min_i32_e32 v96, 31, v17
	v_cmp_gt_i32_e32 vcc_lo, 32, v17
	v_and_b32_sdwa v20, v20, v40 dst_sel:DWORD dst_unused:UNUSED_PAD src0_sel:BYTE_3 src1_sel:DWORD
	v_lshlrev_b32_e32 v96, 2, v96
	v_cndmask_b32_e32 v52, 3, v52, vcc_lo
	v_and_b32_e32 v96, 0xfc, v96
	v_and_b32_e32 v97, 3, v52
	v_or_b32_e32 v17, v17, v52
	v_or3_b32 v20, v96, v20, v97
	v_cmp_ne_u32_e32 vcc_lo, 0, v17
	v_cndmask_b32_e32 v17, 0, v20, vcc_lo
.LBB2_161:                              ;   in Loop: Header=BB2_110 Depth=3
	s_or_b32 exec_lo, exec_lo, s26
.LBB2_162:                              ;   in Loop: Header=BB2_110 Depth=3
	s_or_b32 exec_lo, exec_lo, s25
                                        ; implicit-def: $vgpr52
	s_and_saveexec_b32 s12, s9
	s_xor_b32 s12, exec_lo, s12
	s_cbranch_execz .LBB2_176
; %bb.163:                              ;   in Loop: Header=BB2_110 Depth=3
	v_cmp_gt_i16_sdwa s26, v19, v119 src0_sel:BYTE_1 src1_sel:DWORD
	s_mov_b32 s25, 0
	s_and_saveexec_b32 s27, s26
	s_xor_b32 s26, exec_lo, s27
	s_cbranch_execz .LBB2_420
; %bb.164:                              ;   in Loop: Header=BB2_110 Depth=3
	v_cmp_eq_u16_sdwa s28, v19, v40 src0_sel:BYTE_1 src1_sel:DWORD
	s_mov_b32 s25, -1
	s_and_saveexec_b32 s27, s28
; %bb.165:                              ;   in Loop: Header=BB2_110 Depth=3
	s_xor_b32 s25, exec_lo, -1
; %bb.166:                              ;   in Loop: Header=BB2_110 Depth=3
	s_or_b32 exec_lo, exec_lo, s27
	s_and_b32 s25, s25, exec_lo
	s_or_saveexec_b32 s26, s26
	v_mov_b32_e32 v20, 0x7f800001
	s_xor_b32 exec_lo, exec_lo, s26
	s_cbranch_execnz .LBB2_421
.LBB2_167:                              ;   in Loop: Header=BB2_110 Depth=3
	s_or_b32 exec_lo, exec_lo, s26
	s_and_saveexec_b32 s26, s25
	s_cbranch_execz .LBB2_169
.LBB2_168:                              ;   in Loop: Header=BB2_110 Depth=3
	v_and_b32_sdwa v20, v41, v19 dst_sel:DWORD dst_unused:UNUSED_PAD src0_sel:DWORD src1_sel:BYTE_1
	v_and_b32_e32 v52, 3, v20
	v_bfe_u32 v74, v20, 2, 5
	v_ffbh_u32_e32 v96, v52
	v_cmp_eq_u32_e32 vcc_lo, 0, v74
	v_min_u32_e32 v96, 32, v96
	v_subrev_nc_u32_e32 v97, 29, v96
	v_sub_nc_u32_e32 v96, 30, v96
	v_lshlrev_b32_e32 v20, v97, v20
	v_lshlrev_b32_e32 v97, 16, v19
	v_cndmask_b32_e32 v96, v74, v96, vcc_lo
	v_and_b32_e32 v20, 3, v20
	v_lshl_add_u32 v96, v96, 23, 0x37800000
	v_cndmask_b32_e32 v20, v52, v20, vcc_lo
	v_and_b32_e32 v52, 0x80000000, v97
	v_lshlrev_b32_e32 v20, 21, v20
	v_or3_b32 v20, v52, v96, v20
.LBB2_169:                              ;   in Loop: Header=BB2_110 Depth=3
	s_or_b32 exec_lo, exec_lo, s26
	v_cmp_gt_i16_sdwa s26, v83, v119 src0_sel:BYTE_1 src1_sel:DWORD
	s_mov_b32 s25, 0
	s_and_saveexec_b32 s27, s26
	s_xor_b32 s26, exec_lo, s27
	s_cbranch_execz .LBB2_422
; %bb.170:                              ;   in Loop: Header=BB2_110 Depth=3
	v_cmp_eq_u16_sdwa s28, v83, v40 src0_sel:BYTE_1 src1_sel:DWORD
	s_mov_b32 s25, -1
	s_and_saveexec_b32 s27, s28
; %bb.171:                              ;   in Loop: Header=BB2_110 Depth=3
	s_xor_b32 s25, exec_lo, -1
; %bb.172:                              ;   in Loop: Header=BB2_110 Depth=3
	s_or_b32 exec_lo, exec_lo, s27
	s_and_b32 s25, s25, exec_lo
	s_or_saveexec_b32 s26, s26
	v_mov_b32_e32 v52, 0x7f800001
	s_xor_b32 exec_lo, exec_lo, s26
	s_cbranch_execnz .LBB2_423
.LBB2_173:                              ;   in Loop: Header=BB2_110 Depth=3
	s_or_b32 exec_lo, exec_lo, s26
	s_and_saveexec_b32 s26, s25
	s_cbranch_execz .LBB2_175
.LBB2_174:                              ;   in Loop: Header=BB2_110 Depth=3
	v_and_b32_sdwa v52, v41, v83 dst_sel:DWORD dst_unused:UNUSED_PAD src0_sel:DWORD src1_sel:BYTE_1
	v_and_b32_e32 v96, 3, v52
	v_bfe_u32 v75, v52, 2, 5
	v_ffbh_u32_e32 v97, v96
	v_cmp_eq_u32_e32 vcc_lo, 0, v75
	v_min_u32_e32 v97, 32, v97
	v_subrev_nc_u32_e32 v74, 29, v97
	v_sub_nc_u32_e32 v97, 30, v97
	v_lshlrev_b32_e32 v52, v74, v52
	v_lshlrev_b32_e32 v74, 16, v83
	v_cndmask_b32_e32 v97, v75, v97, vcc_lo
	v_and_b32_e32 v52, 3, v52
	v_lshl_add_u32 v97, v97, 23, 0x37800000
	v_cndmask_b32_e32 v52, v96, v52, vcc_lo
	v_and_b32_e32 v96, 0x80000000, v74
	v_lshlrev_b32_e32 v52, 21, v52
	v_or3_b32 v52, v96, v97, v52
.LBB2_175:                              ;   in Loop: Header=BB2_110 Depth=3
	s_or_b32 exec_lo, exec_lo, s26
	v_max_f32_e32 v52, v52, v52
	v_max_f32_e32 v20, v20, v20
	;; [unrolled: 1-line block ×3, first 2 shown]
	s_andn2_saveexec_b32 s12, s12
	s_cbranch_execz .LBB2_190
	s_branch .LBB2_177
.LBB2_176:                              ;   in Loop: Header=BB2_110 Depth=3
	s_andn2_saveexec_b32 s12, s12
	s_cbranch_execz .LBB2_190
.LBB2_177:                              ;   in Loop: Header=BB2_110 Depth=3
	v_cmp_gt_i16_sdwa s26, v19, v119 src0_sel:BYTE_1 src1_sel:DWORD
	s_mov_b32 s25, 0
	s_and_saveexec_b32 s27, s26
	s_xor_b32 s26, exec_lo, s27
	s_cbranch_execz .LBB2_424
; %bb.178:                              ;   in Loop: Header=BB2_110 Depth=3
	v_cmp_eq_u16_sdwa s28, v19, v40 src0_sel:BYTE_1 src1_sel:DWORD
	s_mov_b32 s25, -1
	s_and_saveexec_b32 s27, s28
; %bb.179:                              ;   in Loop: Header=BB2_110 Depth=3
	s_xor_b32 s25, exec_lo, -1
; %bb.180:                              ;   in Loop: Header=BB2_110 Depth=3
	s_or_b32 exec_lo, exec_lo, s27
	s_and_b32 s25, s25, exec_lo
	s_or_saveexec_b32 s26, s26
	v_mov_b32_e32 v20, 0x7f800001
	s_xor_b32 exec_lo, exec_lo, s26
	s_cbranch_execnz .LBB2_425
.LBB2_181:                              ;   in Loop: Header=BB2_110 Depth=3
	s_or_b32 exec_lo, exec_lo, s26
	s_and_saveexec_b32 s26, s25
	s_cbranch_execz .LBB2_183
.LBB2_182:                              ;   in Loop: Header=BB2_110 Depth=3
	v_and_b32_sdwa v20, v41, v19 dst_sel:DWORD dst_unused:UNUSED_PAD src0_sel:DWORD src1_sel:BYTE_1
	v_and_b32_e32 v52, 3, v20
	v_bfe_u32 v74, v20, 2, 5
	v_ffbh_u32_e32 v96, v52
	v_cmp_eq_u32_e32 vcc_lo, 0, v74
	v_min_u32_e32 v96, 32, v96
	v_subrev_nc_u32_e32 v97, 29, v96
	v_sub_nc_u32_e32 v96, 30, v96
	v_lshlrev_b32_e32 v20, v97, v20
	v_lshlrev_b32_e32 v97, 16, v19
	v_cndmask_b32_e32 v96, v74, v96, vcc_lo
	v_and_b32_e32 v20, 3, v20
	v_lshl_add_u32 v96, v96, 23, 0x37800000
	v_cndmask_b32_e32 v20, v52, v20, vcc_lo
	v_and_b32_e32 v52, 0x80000000, v97
	v_lshlrev_b32_e32 v20, 21, v20
	v_or3_b32 v20, v52, v96, v20
.LBB2_183:                              ;   in Loop: Header=BB2_110 Depth=3
	s_or_b32 exec_lo, exec_lo, s26
	v_cmp_gt_i16_sdwa s26, v83, v119 src0_sel:BYTE_1 src1_sel:DWORD
	s_mov_b32 s25, 0
	s_and_saveexec_b32 s27, s26
	s_xor_b32 s26, exec_lo, s27
	s_cbranch_execz .LBB2_426
; %bb.184:                              ;   in Loop: Header=BB2_110 Depth=3
	v_cmp_eq_u16_sdwa s28, v83, v40 src0_sel:BYTE_1 src1_sel:DWORD
	s_mov_b32 s25, -1
	s_and_saveexec_b32 s27, s28
; %bb.185:                              ;   in Loop: Header=BB2_110 Depth=3
	s_xor_b32 s25, exec_lo, -1
; %bb.186:                              ;   in Loop: Header=BB2_110 Depth=3
	s_or_b32 exec_lo, exec_lo, s27
	s_and_b32 s25, s25, exec_lo
	s_or_saveexec_b32 s26, s26
	v_mov_b32_e32 v52, 0x7f800001
	s_xor_b32 exec_lo, exec_lo, s26
	s_cbranch_execnz .LBB2_427
.LBB2_187:                              ;   in Loop: Header=BB2_110 Depth=3
	s_or_b32 exec_lo, exec_lo, s26
	s_and_saveexec_b32 s26, s25
	s_cbranch_execz .LBB2_189
.LBB2_188:                              ;   in Loop: Header=BB2_110 Depth=3
	v_and_b32_sdwa v52, v41, v83 dst_sel:DWORD dst_unused:UNUSED_PAD src0_sel:DWORD src1_sel:BYTE_1
	v_and_b32_e32 v96, 3, v52
	v_bfe_u32 v75, v52, 2, 5
	v_ffbh_u32_e32 v97, v96
	v_cmp_eq_u32_e32 vcc_lo, 0, v75
	v_min_u32_e32 v97, 32, v97
	v_subrev_nc_u32_e32 v74, 29, v97
	v_sub_nc_u32_e32 v97, 30, v97
	v_lshlrev_b32_e32 v52, v74, v52
	v_lshlrev_b32_e32 v74, 16, v83
	v_cndmask_b32_e32 v97, v75, v97, vcc_lo
	v_and_b32_e32 v52, 3, v52
	v_lshl_add_u32 v97, v97, 23, 0x37800000
	v_cndmask_b32_e32 v52, v96, v52, vcc_lo
	v_and_b32_e32 v96, 0x80000000, v74
	v_lshlrev_b32_e32 v52, 21, v52
	v_or3_b32 v52, v96, v97, v52
.LBB2_189:                              ;   in Loop: Header=BB2_110 Depth=3
	s_or_b32 exec_lo, exec_lo, s26
	v_max_f32_e32 v52, v52, v52
	v_max_f32_e32 v20, v20, v20
	v_min_f32_e32 v52, v20, v52
.LBB2_190:                              ;   in Loop: Header=BB2_110 Depth=3
	s_or_b32 exec_lo, exec_lo, s12
	v_and_b32_e32 v20, 0x7f800000, v52
	v_cmp_ne_u32_e32 vcc_lo, 0x7f800000, v20
	v_mov_b32_e32 v20, 0x8000
	s_and_saveexec_b32 s25, vcc_lo
	s_cbranch_execz .LBB2_198
; %bb.191:                              ;   in Loop: Header=BB2_110 Depth=3
	v_mov_b32_e32 v20, 0
	s_mov_b32 s26, exec_lo
	v_cmpx_ne_u32_e32 0, v52
	s_cbranch_execz .LBB2_197
; %bb.192:                              ;   in Loop: Header=BB2_110 Depth=3
	v_bfe_u32 v20, v52, 23, 8
	v_and_b32_e32 v96, 0x7fffff, v52
	v_sub_nc_u32_e32 v97, 0x70, v20
	v_cmp_gt_u32_e32 vcc_lo, 0x71, v20
	v_or_b32_e32 v74, 0x800000, v96
	v_cndmask_b32_e32 v97, 0, v97, vcc_lo
	v_cmp_eq_u32_e32 vcc_lo, 0, v20
	v_add_nc_u32_e32 v20, 0xffffff91, v20
	v_cndmask_b32_e64 v97, v97, 0x6f, vcc_lo
	v_cndmask_b32_e32 v96, v74, v96, vcc_lo
	v_cndmask_b32_e64 v20, v20, 0xffffff92, vcc_lo
	v_lshl_add_u32 v74, 0x200000, v97, -1
	v_lshrrev_b32_e32 v75, v97, v96
	v_lshlrev_b32_e64 v77, v97, 0x100000
	v_add_nc_u32_e32 v97, v97, v20
	v_and_b32_e32 v96, v74, v96
	v_bfe_u32 v76, v75, 21, 1
	v_cmp_eq_u32_e64 s12, v96, v77
	v_add_nc_u32_e32 v74, -1, v76
	v_cndmask_b32_e64 v96, 0, v74, s12
	v_lshrrev_b32_e32 v74, 23, v75
	s_mov_b32 s12, exec_lo
	v_add_nc_u32_e32 v96, v96, v75
	v_xor_b32_e32 v74, 1, v74
	v_and_b32_e32 v20, 0x1fffff, v96
	v_add_nc_u32_e32 v96, v20, v75
                                        ; implicit-def: $vgpr20
	v_cmpx_ne_u32_e64 v97, v74
	s_xor_b32 s12, exec_lo, s12
; %bb.193:                              ;   in Loop: Header=BB2_110 Depth=3
	v_cmp_lt_u32_e32 vcc_lo, 0xffffff, v96
	v_sub_nc_u32_e32 v20, v97, v74
	v_cndmask_b32_e64 v97, 0, 1, vcc_lo
	v_add_co_ci_u32_e64 v20, null, 0, v20, vcc_lo
	v_lshrrev_b32_e32 v96, v97, v96
; %bb.194:                              ;   in Loop: Header=BB2_110 Depth=3
	s_andn2_saveexec_b32 s12, s12
; %bb.195:                              ;   in Loop: Header=BB2_110 Depth=3
	v_bfe_u32 v20, v96, 23, 1
; %bb.196:                              ;   in Loop: Header=BB2_110 Depth=3
	s_or_b32 exec_lo, exec_lo, s12
	v_lshrrev_b32_e32 v96, 21, v96
	v_min_i32_e32 v97, 31, v20
	v_cmp_gt_i32_e32 vcc_lo, 32, v20
	v_and_b32_sdwa v52, v52, v40 dst_sel:DWORD dst_unused:UNUSED_PAD src0_sel:BYTE_3 src1_sel:DWORD
	v_lshlrev_b32_e32 v97, 2, v97
	v_cndmask_b32_e32 v96, 3, v96, vcc_lo
	v_and_b32_e32 v97, 0xfc, v97
	v_and_b32_e32 v74, 3, v96
	v_or_b32_e32 v20, v20, v96
	v_or3_b32 v52, v52, v97, v74
	v_cmp_ne_u32_e32 vcc_lo, 0, v20
	v_lshlrev_b32_e32 v52, 8, v52
	v_cndmask_b32_e32 v20, 0, v52, vcc_lo
.LBB2_197:                              ;   in Loop: Header=BB2_110 Depth=3
	s_or_b32 exec_lo, exec_lo, s26
.LBB2_198:                              ;   in Loop: Header=BB2_110 Depth=3
	s_or_b32 exec_lo, exec_lo, s25
                                        ; implicit-def: $vgpr96
	s_and_saveexec_b32 s12, s9
	s_xor_b32 s12, exec_lo, s12
	s_cbranch_execz .LBB2_212
; %bb.199:                              ;   in Loop: Header=BB2_110 Depth=3
	v_and_b32_sdwa v96, v19, v42 dst_sel:DWORD dst_unused:UNUSED_PAD src0_sel:WORD_1 src1_sel:DWORD
	s_mov_b32 s25, 0
	s_mov_b32 s26, exec_lo
	v_cmpx_lt_i16_e32 0x7f, v96
	s_xor_b32 s26, exec_lo, s26
	s_cbranch_execz .LBB2_428
; %bb.200:                              ;   in Loop: Header=BB2_110 Depth=3
	s_mov_b32 s25, -1
	s_mov_b32 s27, exec_lo
	v_cmpx_eq_u16_e32 0x80, v96
; %bb.201:                              ;   in Loop: Header=BB2_110 Depth=3
	s_xor_b32 s25, exec_lo, -1
; %bb.202:                              ;   in Loop: Header=BB2_110 Depth=3
	s_or_b32 exec_lo, exec_lo, s27
	s_and_b32 s25, s25, exec_lo
                                        ; implicit-def: $vgpr96
	s_or_saveexec_b32 s26, s26
	v_mov_b32_e32 v52, 0x7f800001
	s_xor_b32 exec_lo, exec_lo, s26
	s_cbranch_execnz .LBB2_429
.LBB2_203:                              ;   in Loop: Header=BB2_110 Depth=3
	s_or_b32 exec_lo, exec_lo, s26
	s_and_saveexec_b32 s26, s25
	s_cbranch_execz .LBB2_205
.LBB2_204:                              ;   in Loop: Header=BB2_110 Depth=3
	v_bfe_u32 v52, v19, 16, 2
	v_bfe_u32 v74, v19, 18, 5
	v_lshlrev_b32_sdwa v75, v43, v19 dst_sel:DWORD dst_unused:UNUSED_PAD src0_sel:DWORD src1_sel:WORD_1
	v_ffbh_u32_e32 v96, v52
	v_cmp_eq_u32_e32 vcc_lo, 0, v74
	v_min_u32_e32 v96, 32, v96
	v_subrev_nc_u32_e32 v97, 29, v96
	v_sub_nc_u32_e32 v96, 30, v96
	v_lshlrev_b32_sdwa v97, v97, v19 dst_sel:DWORD dst_unused:UNUSED_PAD src0_sel:DWORD src1_sel:WORD_1
	v_cndmask_b32_e32 v96, v74, v96, vcc_lo
	v_and_b32_e32 v97, 3, v97
	v_lshl_add_u32 v96, v96, 23, 0x37800000
	v_cndmask_b32_e32 v52, v52, v97, vcc_lo
	v_and_b32_e32 v97, 0x80000000, v75
	v_lshlrev_b32_e32 v52, 21, v52
	v_or3_b32 v52, v97, v96, v52
.LBB2_205:                              ;   in Loop: Header=BB2_110 Depth=3
	s_or_b32 exec_lo, exec_lo, s26
	v_and_b32_sdwa v97, v83, v42 dst_sel:DWORD dst_unused:UNUSED_PAD src0_sel:WORD_1 src1_sel:DWORD
	s_mov_b32 s25, 0
	s_mov_b32 s26, exec_lo
	v_cmpx_lt_i16_e32 0x7f, v97
	s_xor_b32 s26, exec_lo, s26
	s_cbranch_execz .LBB2_430
; %bb.206:                              ;   in Loop: Header=BB2_110 Depth=3
	s_mov_b32 s25, -1
	s_mov_b32 s27, exec_lo
	v_cmpx_eq_u16_e32 0x80, v97
; %bb.207:                              ;   in Loop: Header=BB2_110 Depth=3
	s_xor_b32 s25, exec_lo, -1
; %bb.208:                              ;   in Loop: Header=BB2_110 Depth=3
	s_or_b32 exec_lo, exec_lo, s27
	s_and_b32 s25, s25, exec_lo
                                        ; implicit-def: $vgpr97
	s_or_saveexec_b32 s26, s26
	v_mov_b32_e32 v96, 0x7f800001
	s_xor_b32 exec_lo, exec_lo, s26
	s_cbranch_execnz .LBB2_431
.LBB2_209:                              ;   in Loop: Header=BB2_110 Depth=3
	s_or_b32 exec_lo, exec_lo, s26
	s_and_saveexec_b32 s26, s25
	s_cbranch_execz .LBB2_211
.LBB2_210:                              ;   in Loop: Header=BB2_110 Depth=3
	v_bfe_u32 v96, v83, 16, 2
	v_bfe_u32 v75, v83, 18, 5
	v_lshlrev_b32_sdwa v76, v43, v83 dst_sel:DWORD dst_unused:UNUSED_PAD src0_sel:DWORD src1_sel:WORD_1
	v_ffbh_u32_e32 v97, v96
	v_cmp_eq_u32_e32 vcc_lo, 0, v75
	v_min_u32_e32 v97, 32, v97
	v_subrev_nc_u32_e32 v74, 29, v97
	v_sub_nc_u32_e32 v97, 30, v97
	v_lshlrev_b32_sdwa v74, v74, v83 dst_sel:DWORD dst_unused:UNUSED_PAD src0_sel:DWORD src1_sel:WORD_1
	v_cndmask_b32_e32 v97, v75, v97, vcc_lo
	v_and_b32_e32 v74, 3, v74
	v_lshl_add_u32 v97, v97, 23, 0x37800000
	v_cndmask_b32_e32 v96, v96, v74, vcc_lo
	v_and_b32_e32 v74, 0x80000000, v76
	v_lshlrev_b32_e32 v96, 21, v96
	v_or3_b32 v96, v74, v97, v96
.LBB2_211:                              ;   in Loop: Header=BB2_110 Depth=3
	s_or_b32 exec_lo, exec_lo, s26
	v_max_f32_e32 v96, v96, v96
	v_max_f32_e32 v52, v52, v52
	;; [unrolled: 1-line block ×3, first 2 shown]
	s_andn2_saveexec_b32 s12, s12
	s_cbranch_execz .LBB2_226
	s_branch .LBB2_213
.LBB2_212:                              ;   in Loop: Header=BB2_110 Depth=3
	s_andn2_saveexec_b32 s12, s12
	s_cbranch_execz .LBB2_226
.LBB2_213:                              ;   in Loop: Header=BB2_110 Depth=3
	v_and_b32_sdwa v96, v19, v42 dst_sel:DWORD dst_unused:UNUSED_PAD src0_sel:WORD_1 src1_sel:DWORD
	s_mov_b32 s25, 0
	s_mov_b32 s26, exec_lo
	v_cmpx_lt_i16_e32 0x7f, v96
	s_xor_b32 s26, exec_lo, s26
	s_cbranch_execz .LBB2_432
; %bb.214:                              ;   in Loop: Header=BB2_110 Depth=3
	s_mov_b32 s25, -1
	s_mov_b32 s27, exec_lo
	v_cmpx_eq_u16_e32 0x80, v96
; %bb.215:                              ;   in Loop: Header=BB2_110 Depth=3
	s_xor_b32 s25, exec_lo, -1
; %bb.216:                              ;   in Loop: Header=BB2_110 Depth=3
	s_or_b32 exec_lo, exec_lo, s27
	s_and_b32 s25, s25, exec_lo
                                        ; implicit-def: $vgpr96
	s_or_saveexec_b32 s26, s26
	v_mov_b32_e32 v52, 0x7f800001
	s_xor_b32 exec_lo, exec_lo, s26
	s_cbranch_execnz .LBB2_433
.LBB2_217:                              ;   in Loop: Header=BB2_110 Depth=3
	s_or_b32 exec_lo, exec_lo, s26
	s_and_saveexec_b32 s26, s25
	s_cbranch_execz .LBB2_219
.LBB2_218:                              ;   in Loop: Header=BB2_110 Depth=3
	v_bfe_u32 v52, v19, 16, 2
	v_bfe_u32 v74, v19, 18, 5
	v_lshlrev_b32_sdwa v75, v43, v19 dst_sel:DWORD dst_unused:UNUSED_PAD src0_sel:DWORD src1_sel:WORD_1
	v_ffbh_u32_e32 v96, v52
	v_cmp_eq_u32_e32 vcc_lo, 0, v74
	v_min_u32_e32 v96, 32, v96
	v_subrev_nc_u32_e32 v97, 29, v96
	v_sub_nc_u32_e32 v96, 30, v96
	v_lshlrev_b32_sdwa v97, v97, v19 dst_sel:DWORD dst_unused:UNUSED_PAD src0_sel:DWORD src1_sel:WORD_1
	v_cndmask_b32_e32 v96, v74, v96, vcc_lo
	v_and_b32_e32 v97, 3, v97
	v_lshl_add_u32 v96, v96, 23, 0x37800000
	v_cndmask_b32_e32 v52, v52, v97, vcc_lo
	v_and_b32_e32 v97, 0x80000000, v75
	v_lshlrev_b32_e32 v52, 21, v52
	v_or3_b32 v52, v97, v96, v52
.LBB2_219:                              ;   in Loop: Header=BB2_110 Depth=3
	s_or_b32 exec_lo, exec_lo, s26
	v_and_b32_sdwa v97, v83, v42 dst_sel:DWORD dst_unused:UNUSED_PAD src0_sel:WORD_1 src1_sel:DWORD
	s_mov_b32 s25, 0
	s_mov_b32 s26, exec_lo
	v_cmpx_lt_i16_e32 0x7f, v97
	s_xor_b32 s26, exec_lo, s26
	s_cbranch_execz .LBB2_434
; %bb.220:                              ;   in Loop: Header=BB2_110 Depth=3
	s_mov_b32 s25, -1
	s_mov_b32 s27, exec_lo
	v_cmpx_eq_u16_e32 0x80, v97
; %bb.221:                              ;   in Loop: Header=BB2_110 Depth=3
	s_xor_b32 s25, exec_lo, -1
; %bb.222:                              ;   in Loop: Header=BB2_110 Depth=3
	s_or_b32 exec_lo, exec_lo, s27
	s_and_b32 s25, s25, exec_lo
                                        ; implicit-def: $vgpr97
	s_or_saveexec_b32 s26, s26
	v_mov_b32_e32 v96, 0x7f800001
	s_xor_b32 exec_lo, exec_lo, s26
	s_cbranch_execnz .LBB2_435
.LBB2_223:                              ;   in Loop: Header=BB2_110 Depth=3
	s_or_b32 exec_lo, exec_lo, s26
	s_and_saveexec_b32 s26, s25
	s_cbranch_execz .LBB2_225
.LBB2_224:                              ;   in Loop: Header=BB2_110 Depth=3
	v_bfe_u32 v96, v83, 16, 2
	v_bfe_u32 v75, v83, 18, 5
	v_lshlrev_b32_sdwa v76, v43, v83 dst_sel:DWORD dst_unused:UNUSED_PAD src0_sel:DWORD src1_sel:WORD_1
	v_ffbh_u32_e32 v97, v96
	v_cmp_eq_u32_e32 vcc_lo, 0, v75
	v_min_u32_e32 v97, 32, v97
	v_subrev_nc_u32_e32 v74, 29, v97
	v_sub_nc_u32_e32 v97, 30, v97
	v_lshlrev_b32_sdwa v74, v74, v83 dst_sel:DWORD dst_unused:UNUSED_PAD src0_sel:DWORD src1_sel:WORD_1
	v_cndmask_b32_e32 v97, v75, v97, vcc_lo
	v_and_b32_e32 v74, 3, v74
	v_lshl_add_u32 v97, v97, 23, 0x37800000
	v_cndmask_b32_e32 v96, v96, v74, vcc_lo
	v_and_b32_e32 v74, 0x80000000, v76
	v_lshlrev_b32_e32 v96, 21, v96
	v_or3_b32 v96, v74, v97, v96
.LBB2_225:                              ;   in Loop: Header=BB2_110 Depth=3
	s_or_b32 exec_lo, exec_lo, s26
	v_max_f32_e32 v96, v96, v96
	v_max_f32_e32 v52, v52, v52
	v_min_f32_e32 v96, v52, v96
.LBB2_226:                              ;   in Loop: Header=BB2_110 Depth=3
	s_or_b32 exec_lo, exec_lo, s12
	v_and_b32_e32 v52, 0x7f800000, v96
	v_cmp_ne_u32_e32 vcc_lo, 0x7f800000, v52
	v_mov_b32_e32 v52, 0x80
	s_and_saveexec_b32 s25, vcc_lo
	s_cbranch_execz .LBB2_234
; %bb.227:                              ;   in Loop: Header=BB2_110 Depth=3
	v_mov_b32_e32 v52, 0
	s_mov_b32 s26, exec_lo
	v_cmpx_ne_u32_e32 0, v96
	s_cbranch_execz .LBB2_233
; %bb.228:                              ;   in Loop: Header=BB2_110 Depth=3
	v_bfe_u32 v52, v96, 23, 8
	v_and_b32_e32 v97, 0x7fffff, v96
	v_sub_nc_u32_e32 v74, 0x70, v52
	v_cmp_gt_u32_e32 vcc_lo, 0x71, v52
	v_or_b32_e32 v75, 0x800000, v97
	v_cndmask_b32_e32 v74, 0, v74, vcc_lo
	v_cmp_eq_u32_e32 vcc_lo, 0, v52
	v_add_nc_u32_e32 v52, 0xffffff91, v52
	v_cndmask_b32_e64 v74, v74, 0x6f, vcc_lo
	v_cndmask_b32_e32 v97, v75, v97, vcc_lo
	v_cndmask_b32_e64 v52, v52, 0xffffff92, vcc_lo
	v_lshl_add_u32 v75, 0x200000, v74, -1
	v_lshrrev_b32_e32 v76, v74, v97
	v_lshlrev_b32_e64 v78, v74, 0x100000
	v_add_nc_u32_e32 v74, v74, v52
	v_and_b32_e32 v97, v75, v97
	v_bfe_u32 v77, v76, 21, 1
	v_cmp_eq_u32_e64 s12, v97, v78
	v_add_nc_u32_e32 v75, -1, v77
	v_cndmask_b32_e64 v97, 0, v75, s12
	v_lshrrev_b32_e32 v75, 23, v76
	s_mov_b32 s12, exec_lo
	v_add_nc_u32_e32 v97, v97, v76
	v_xor_b32_e32 v75, 1, v75
	v_and_b32_e32 v52, 0x1fffff, v97
	v_add_nc_u32_e32 v97, v52, v76
                                        ; implicit-def: $vgpr52
	v_cmpx_ne_u32_e64 v74, v75
	s_xor_b32 s12, exec_lo, s12
; %bb.229:                              ;   in Loop: Header=BB2_110 Depth=3
	v_cmp_lt_u32_e32 vcc_lo, 0xffffff, v97
	v_sub_nc_u32_e32 v52, v74, v75
	v_cndmask_b32_e64 v74, 0, 1, vcc_lo
	v_add_co_ci_u32_e64 v52, null, 0, v52, vcc_lo
	v_lshrrev_b32_e32 v97, v74, v97
; %bb.230:                              ;   in Loop: Header=BB2_110 Depth=3
	s_andn2_saveexec_b32 s12, s12
; %bb.231:                              ;   in Loop: Header=BB2_110 Depth=3
	v_bfe_u32 v52, v97, 23, 1
; %bb.232:                              ;   in Loop: Header=BB2_110 Depth=3
	s_or_b32 exec_lo, exec_lo, s12
	v_lshrrev_b32_e32 v97, 21, v97
	v_min_i32_e32 v74, 31, v52
	v_cmp_gt_i32_e32 vcc_lo, 32, v52
	v_and_b32_sdwa v96, v96, v40 dst_sel:DWORD dst_unused:UNUSED_PAD src0_sel:BYTE_3 src1_sel:DWORD
	v_lshlrev_b32_e32 v74, 2, v74
	v_cndmask_b32_e32 v97, 3, v97, vcc_lo
	v_and_b32_e32 v74, 0xfc, v74
	v_and_b32_e32 v75, 3, v97
	v_or_b32_e32 v52, v52, v97
	v_or3_b32 v96, v74, v96, v75
	v_cmp_ne_u32_e32 vcc_lo, 0, v52
	v_cndmask_b32_e32 v52, 0, v96, vcc_lo
.LBB2_233:                              ;   in Loop: Header=BB2_110 Depth=3
	s_or_b32 exec_lo, exec_lo, s26
.LBB2_234:                              ;   in Loop: Header=BB2_110 Depth=3
	s_or_b32 exec_lo, exec_lo, s25
                                        ; implicit-def: $vgpr96
	s_and_saveexec_b32 s12, s9
	s_xor_b32 s12, exec_lo, s12
	s_cbranch_execz .LBB2_248
; %bb.235:                              ;   in Loop: Header=BB2_110 Depth=3
	v_cmp_gt_i16_sdwa s26, v19, v119 src0_sel:BYTE_3 src1_sel:DWORD
	s_mov_b32 s25, 0
	s_and_saveexec_b32 s27, s26
	s_xor_b32 s26, exec_lo, s27
	s_cbranch_execz .LBB2_436
; %bb.236:                              ;   in Loop: Header=BB2_110 Depth=3
	v_cmp_eq_u16_sdwa s28, v19, v40 src0_sel:BYTE_3 src1_sel:DWORD
	s_mov_b32 s25, -1
	s_and_saveexec_b32 s27, s28
; %bb.237:                              ;   in Loop: Header=BB2_110 Depth=3
	s_xor_b32 s25, exec_lo, -1
; %bb.238:                              ;   in Loop: Header=BB2_110 Depth=3
	s_or_b32 exec_lo, exec_lo, s27
	s_and_b32 s25, s25, exec_lo
	s_or_saveexec_b32 s26, s26
	v_mov_b32_e32 v96, 0x7f800001
	s_xor_b32 exec_lo, exec_lo, s26
	s_cbranch_execnz .LBB2_437
.LBB2_239:                              ;   in Loop: Header=BB2_110 Depth=3
	s_or_b32 exec_lo, exec_lo, s26
	s_and_saveexec_b32 s26, s25
	s_cbranch_execz .LBB2_241
.LBB2_240:                              ;   in Loop: Header=BB2_110 Depth=3
	v_bfe_u32 v96, v19, 24, 2
	v_bfe_u32 v75, v19, 26, 5
	v_ffbh_u32_e32 v97, v96
	v_cmp_eq_u32_e32 vcc_lo, 0, v75
	v_min_u32_e32 v97, 32, v97
	v_subrev_nc_u32_e32 v74, 29, v97
	v_sub_nc_u32_e32 v97, 30, v97
	v_lshlrev_b32_sdwa v74, v74, v19 dst_sel:DWORD dst_unused:UNUSED_PAD src0_sel:DWORD src1_sel:BYTE_3
	v_cndmask_b32_e32 v97, v75, v97, vcc_lo
	v_and_b32_e32 v19, 0x80000000, v19
	v_and_b32_e32 v74, 3, v74
	v_lshl_add_u32 v97, v97, 23, 0x37800000
	v_cndmask_b32_e32 v96, v96, v74, vcc_lo
	v_lshlrev_b32_e32 v96, 21, v96
	v_or3_b32 v96, v19, v97, v96
.LBB2_241:                              ;   in Loop: Header=BB2_110 Depth=3
	s_or_b32 exec_lo, exec_lo, s26
	v_cmp_gt_i16_sdwa s26, v83, v119 src0_sel:BYTE_3 src1_sel:DWORD
	s_mov_b32 s25, 0
	s_and_saveexec_b32 s27, s26
	s_xor_b32 s26, exec_lo, s27
	s_cbranch_execz .LBB2_438
; %bb.242:                              ;   in Loop: Header=BB2_110 Depth=3
	v_cmp_eq_u16_sdwa s28, v83, v40 src0_sel:BYTE_3 src1_sel:DWORD
	s_mov_b32 s25, -1
	s_and_saveexec_b32 s27, s28
; %bb.243:                              ;   in Loop: Header=BB2_110 Depth=3
	s_xor_b32 s25, exec_lo, -1
; %bb.244:                              ;   in Loop: Header=BB2_110 Depth=3
	s_or_b32 exec_lo, exec_lo, s27
	s_and_b32 s25, s25, exec_lo
	s_or_saveexec_b32 s26, s26
	v_mov_b32_e32 v19, 0x7f800001
	s_xor_b32 exec_lo, exec_lo, s26
	s_cbranch_execnz .LBB2_439
.LBB2_245:                              ;   in Loop: Header=BB2_110 Depth=3
	s_or_b32 exec_lo, exec_lo, s26
	s_and_saveexec_b32 s26, s25
	s_cbranch_execz .LBB2_247
.LBB2_246:                              ;   in Loop: Header=BB2_110 Depth=3
	v_bfe_u32 v19, v83, 24, 2
	v_bfe_u32 v75, v83, 26, 5
	v_ffbh_u32_e32 v97, v19
	v_cmp_eq_u32_e32 vcc_lo, 0, v75
	v_min_u32_e32 v97, 32, v97
	v_subrev_nc_u32_e32 v74, 29, v97
	v_sub_nc_u32_e32 v97, 30, v97
	v_lshlrev_b32_sdwa v74, v74, v83 dst_sel:DWORD dst_unused:UNUSED_PAD src0_sel:DWORD src1_sel:BYTE_3
	v_cndmask_b32_e32 v97, v75, v97, vcc_lo
	v_and_b32_e32 v83, 0x80000000, v83
	v_and_b32_e32 v74, 3, v74
	v_lshl_add_u32 v97, v97, 23, 0x37800000
	v_cndmask_b32_e32 v19, v19, v74, vcc_lo
	v_lshlrev_b32_e32 v19, 21, v19
	v_or3_b32 v19, v83, v97, v19
.LBB2_247:                              ;   in Loop: Header=BB2_110 Depth=3
	s_or_b32 exec_lo, exec_lo, s26
	v_max_f32_e32 v19, v19, v19
	v_max_f32_e32 v83, v96, v96
	;; [unrolled: 1-line block ×3, first 2 shown]
                                        ; implicit-def: $vgpr83
	s_andn2_saveexec_b32 s12, s12
	s_cbranch_execz .LBB2_262
	s_branch .LBB2_249
.LBB2_248:                              ;   in Loop: Header=BB2_110 Depth=3
	s_andn2_saveexec_b32 s12, s12
	s_cbranch_execz .LBB2_262
.LBB2_249:                              ;   in Loop: Header=BB2_110 Depth=3
	v_cmp_gt_i16_sdwa s26, v19, v119 src0_sel:BYTE_3 src1_sel:DWORD
	s_mov_b32 s25, 0
	s_and_saveexec_b32 s27, s26
	s_xor_b32 s26, exec_lo, s27
	s_cbranch_execz .LBB2_440
; %bb.250:                              ;   in Loop: Header=BB2_110 Depth=3
	v_cmp_eq_u16_sdwa s28, v19, v40 src0_sel:BYTE_3 src1_sel:DWORD
	s_mov_b32 s25, -1
	s_and_saveexec_b32 s27, s28
; %bb.251:                              ;   in Loop: Header=BB2_110 Depth=3
	s_xor_b32 s25, exec_lo, -1
; %bb.252:                              ;   in Loop: Header=BB2_110 Depth=3
	s_or_b32 exec_lo, exec_lo, s27
	s_and_b32 s25, s25, exec_lo
	s_or_saveexec_b32 s26, s26
	v_mov_b32_e32 v96, 0x7f800001
	s_xor_b32 exec_lo, exec_lo, s26
	s_cbranch_execnz .LBB2_441
.LBB2_253:                              ;   in Loop: Header=BB2_110 Depth=3
	s_or_b32 exec_lo, exec_lo, s26
	s_and_saveexec_b32 s26, s25
	s_cbranch_execz .LBB2_255
.LBB2_254:                              ;   in Loop: Header=BB2_110 Depth=3
	v_bfe_u32 v96, v19, 24, 2
	v_bfe_u32 v75, v19, 26, 5
	v_ffbh_u32_e32 v97, v96
	v_cmp_eq_u32_e32 vcc_lo, 0, v75
	v_min_u32_e32 v97, 32, v97
	v_subrev_nc_u32_e32 v74, 29, v97
	v_sub_nc_u32_e32 v97, 30, v97
	v_lshlrev_b32_sdwa v74, v74, v19 dst_sel:DWORD dst_unused:UNUSED_PAD src0_sel:DWORD src1_sel:BYTE_3
	v_cndmask_b32_e32 v97, v75, v97, vcc_lo
	v_and_b32_e32 v19, 0x80000000, v19
	v_and_b32_e32 v74, 3, v74
	v_lshl_add_u32 v97, v97, 23, 0x37800000
	v_cndmask_b32_e32 v96, v96, v74, vcc_lo
	v_lshlrev_b32_e32 v96, 21, v96
	v_or3_b32 v96, v19, v97, v96
.LBB2_255:                              ;   in Loop: Header=BB2_110 Depth=3
	s_or_b32 exec_lo, exec_lo, s26
	v_cmp_gt_i16_sdwa s26, v83, v119 src0_sel:BYTE_3 src1_sel:DWORD
	s_mov_b32 s25, 0
	s_and_saveexec_b32 s27, s26
	s_xor_b32 s26, exec_lo, s27
	s_cbranch_execz .LBB2_442
; %bb.256:                              ;   in Loop: Header=BB2_110 Depth=3
	v_cmp_eq_u16_sdwa s28, v83, v40 src0_sel:BYTE_3 src1_sel:DWORD
	s_mov_b32 s25, -1
	s_and_saveexec_b32 s27, s28
; %bb.257:                              ;   in Loop: Header=BB2_110 Depth=3
	s_xor_b32 s25, exec_lo, -1
; %bb.258:                              ;   in Loop: Header=BB2_110 Depth=3
	s_or_b32 exec_lo, exec_lo, s27
	s_and_b32 s25, s25, exec_lo
	s_or_saveexec_b32 s26, s26
	v_mov_b32_e32 v19, 0x7f800001
	s_xor_b32 exec_lo, exec_lo, s26
	s_cbranch_execnz .LBB2_443
.LBB2_259:                              ;   in Loop: Header=BB2_110 Depth=3
	s_or_b32 exec_lo, exec_lo, s26
	s_and_saveexec_b32 s26, s25
	s_cbranch_execz .LBB2_261
.LBB2_260:                              ;   in Loop: Header=BB2_110 Depth=3
	v_bfe_u32 v19, v83, 24, 2
	v_bfe_u32 v75, v83, 26, 5
	v_ffbh_u32_e32 v97, v19
	v_cmp_eq_u32_e32 vcc_lo, 0, v75
	v_min_u32_e32 v97, 32, v97
	v_subrev_nc_u32_e32 v74, 29, v97
	v_sub_nc_u32_e32 v97, 30, v97
	v_lshlrev_b32_sdwa v74, v74, v83 dst_sel:DWORD dst_unused:UNUSED_PAD src0_sel:DWORD src1_sel:BYTE_3
	v_cndmask_b32_e32 v97, v75, v97, vcc_lo
	v_and_b32_e32 v83, 0x80000000, v83
	v_and_b32_e32 v74, 3, v74
	v_lshl_add_u32 v97, v97, 23, 0x37800000
	v_cndmask_b32_e32 v19, v19, v74, vcc_lo
	v_lshlrev_b32_e32 v19, 21, v19
	v_or3_b32 v19, v83, v97, v19
.LBB2_261:                              ;   in Loop: Header=BB2_110 Depth=3
	s_or_b32 exec_lo, exec_lo, s26
	v_max_f32_e32 v19, v19, v19
	v_max_f32_e32 v83, v96, v96
	v_min_f32_e32 v96, v83, v19
.LBB2_262:                              ;   in Loop: Header=BB2_110 Depth=3
	s_or_b32 exec_lo, exec_lo, s12
	v_and_b32_e32 v19, 0x7f800000, v96
	v_cmp_ne_u32_e32 vcc_lo, 0x7f800000, v19
	v_mov_b32_e32 v19, 0x8000
	s_and_saveexec_b32 s25, vcc_lo
	s_cbranch_execz .LBB2_270
; %bb.263:                              ;   in Loop: Header=BB2_110 Depth=3
	v_mov_b32_e32 v19, 0
	s_mov_b32 s26, exec_lo
	v_cmpx_ne_u32_e32 0, v96
	s_cbranch_execz .LBB2_269
; %bb.264:                              ;   in Loop: Header=BB2_110 Depth=3
	v_bfe_u32 v19, v96, 23, 8
	v_and_b32_e32 v83, 0x7fffff, v96
	v_sub_nc_u32_e32 v97, 0x70, v19
	v_cmp_gt_u32_e32 vcc_lo, 0x71, v19
	v_or_b32_e32 v74, 0x800000, v83
	v_cndmask_b32_e32 v97, 0, v97, vcc_lo
	v_cmp_eq_u32_e32 vcc_lo, 0, v19
	v_add_nc_u32_e32 v19, 0xffffff91, v19
	v_cndmask_b32_e64 v97, v97, 0x6f, vcc_lo
	v_cndmask_b32_e32 v83, v74, v83, vcc_lo
	v_cndmask_b32_e64 v19, v19, 0xffffff92, vcc_lo
	v_lshl_add_u32 v74, 0x200000, v97, -1
	v_lshrrev_b32_e32 v75, v97, v83
	v_lshlrev_b32_e64 v77, v97, 0x100000
	v_add_nc_u32_e32 v97, v97, v19
	v_and_b32_e32 v83, v74, v83
	v_bfe_u32 v76, v75, 21, 1
	v_cmp_eq_u32_e64 s12, v83, v77
	v_add_nc_u32_e32 v74, -1, v76
	v_cndmask_b32_e64 v83, 0, v74, s12
	v_lshrrev_b32_e32 v74, 23, v75
	s_mov_b32 s12, exec_lo
	v_add_nc_u32_e32 v83, v83, v75
	v_xor_b32_e32 v74, 1, v74
	v_and_b32_e32 v19, 0x1fffff, v83
	v_add_nc_u32_e32 v83, v19, v75
                                        ; implicit-def: $vgpr19
	v_cmpx_ne_u32_e64 v97, v74
	s_xor_b32 s12, exec_lo, s12
; %bb.265:                              ;   in Loop: Header=BB2_110 Depth=3
	v_cmp_lt_u32_e32 vcc_lo, 0xffffff, v83
	v_sub_nc_u32_e32 v19, v97, v74
	v_cndmask_b32_e64 v97, 0, 1, vcc_lo
	v_add_co_ci_u32_e64 v19, null, 0, v19, vcc_lo
	v_lshrrev_b32_e32 v83, v97, v83
; %bb.266:                              ;   in Loop: Header=BB2_110 Depth=3
	s_andn2_saveexec_b32 s12, s12
; %bb.267:                              ;   in Loop: Header=BB2_110 Depth=3
	v_bfe_u32 v19, v83, 23, 1
; %bb.268:                              ;   in Loop: Header=BB2_110 Depth=3
	s_or_b32 exec_lo, exec_lo, s12
	v_lshrrev_b32_e32 v83, 21, v83
	v_min_i32_e32 v97, 31, v19
	v_cmp_gt_i32_e32 vcc_lo, 32, v19
	v_and_b32_sdwa v96, v96, v40 dst_sel:DWORD dst_unused:UNUSED_PAD src0_sel:BYTE_3 src1_sel:DWORD
	v_lshlrev_b32_e32 v97, 2, v97
	v_cndmask_b32_e32 v83, 3, v83, vcc_lo
	v_and_b32_e32 v97, 0xfc, v97
	v_and_b32_e32 v74, 3, v83
	v_or_b32_e32 v19, v19, v83
	v_or3_b32 v96, v96, v97, v74
	v_cmp_ne_u32_e32 vcc_lo, 0, v19
	v_lshlrev_b32_e32 v83, 8, v96
	v_cndmask_b32_e32 v19, 0, v83, vcc_lo
.LBB2_269:                              ;   in Loop: Header=BB2_110 Depth=3
	s_or_b32 exec_lo, exec_lo, s26
.LBB2_270:                              ;   in Loop: Header=BB2_110 Depth=3
	s_or_b32 exec_lo, exec_lo, s25
	v_alignbit_b32 v83, v72, v73, v22
                                        ; implicit-def: $vgpr22
	s_and_saveexec_b32 s12, s9
	s_xor_b32 s12, exec_lo, s12
	s_cbranch_execz .LBB2_284
; %bb.271:                              ;   in Loop: Header=BB2_110 Depth=3
	v_cmp_gt_i16_sdwa s26, v21, v119 src0_sel:BYTE_0 src1_sel:DWORD
	s_mov_b32 s25, 0
	s_and_saveexec_b32 s27, s26
	s_xor_b32 s26, exec_lo, s27
	s_cbranch_execz .LBB2_444
; %bb.272:                              ;   in Loop: Header=BB2_110 Depth=3
	v_cmp_eq_u16_sdwa s28, v21, v40 src0_sel:BYTE_0 src1_sel:DWORD
	s_mov_b32 s25, -1
	s_and_saveexec_b32 s27, s28
; %bb.273:                              ;   in Loop: Header=BB2_110 Depth=3
	s_xor_b32 s25, exec_lo, -1
; %bb.274:                              ;   in Loop: Header=BB2_110 Depth=3
	s_or_b32 exec_lo, exec_lo, s27
	s_and_b32 s25, s25, exec_lo
	s_or_saveexec_b32 s26, s26
	v_mov_b32_e32 v22, 0x7f800001
	s_xor_b32 exec_lo, exec_lo, s26
	s_cbranch_execnz .LBB2_445
.LBB2_275:                              ;   in Loop: Header=BB2_110 Depth=3
	s_or_b32 exec_lo, exec_lo, s26
	s_and_saveexec_b32 s26, s25
	s_cbranch_execz .LBB2_277
.LBB2_276:                              ;   in Loop: Header=BB2_110 Depth=3
	v_and_b32_e32 v22, 3, v21
	v_bfe_u32 v72, v21, 2, 5
	v_lshlrev_b32_e32 v73, 24, v21
	v_ffbh_u32_e32 v96, v22
	v_cmp_eq_u32_e32 vcc_lo, 0, v72
	v_min_u32_e32 v96, 32, v96
	v_subrev_nc_u32_e32 v97, 29, v96
	v_sub_nc_u32_e32 v96, 30, v96
	v_lshlrev_b32_e32 v97, v97, v21
	v_cndmask_b32_e32 v96, v72, v96, vcc_lo
	v_and_b32_e32 v97, 3, v97
	v_lshl_add_u32 v96, v96, 23, 0x37800000
	v_cndmask_b32_e32 v22, v22, v97, vcc_lo
	v_and_b32_e32 v97, 0x80000000, v73
	v_lshlrev_b32_e32 v22, 21, v22
	v_or3_b32 v22, v97, v96, v22
.LBB2_277:                              ;   in Loop: Header=BB2_110 Depth=3
	s_or_b32 exec_lo, exec_lo, s26
	v_cmp_gt_i16_sdwa s26, v83, v119 src0_sel:BYTE_0 src1_sel:DWORD
	s_mov_b32 s25, 0
	s_and_saveexec_b32 s27, s26
	s_xor_b32 s26, exec_lo, s27
	s_cbranch_execz .LBB2_446
; %bb.278:                              ;   in Loop: Header=BB2_110 Depth=3
	v_cmp_eq_u16_sdwa s28, v83, v40 src0_sel:BYTE_0 src1_sel:DWORD
	s_mov_b32 s25, -1
	s_and_saveexec_b32 s27, s28
; %bb.279:                              ;   in Loop: Header=BB2_110 Depth=3
	s_xor_b32 s25, exec_lo, -1
; %bb.280:                              ;   in Loop: Header=BB2_110 Depth=3
	s_or_b32 exec_lo, exec_lo, s27
	s_and_b32 s25, s25, exec_lo
	s_or_saveexec_b32 s26, s26
	v_mov_b32_e32 v96, 0x7f800001
	s_xor_b32 exec_lo, exec_lo, s26
	s_cbranch_execnz .LBB2_447
.LBB2_281:                              ;   in Loop: Header=BB2_110 Depth=3
	s_or_b32 exec_lo, exec_lo, s26
	s_and_saveexec_b32 s26, s25
	s_cbranch_execz .LBB2_283
.LBB2_282:                              ;   in Loop: Header=BB2_110 Depth=3
	v_and_b32_e32 v96, 3, v83
	v_bfe_u32 v73, v83, 2, 5
	v_lshlrev_b32_e32 v74, 24, v83
	v_ffbh_u32_e32 v97, v96
	v_cmp_eq_u32_e32 vcc_lo, 0, v73
	v_min_u32_e32 v97, 32, v97
	v_subrev_nc_u32_e32 v72, 29, v97
	v_sub_nc_u32_e32 v97, 30, v97
	v_lshlrev_b32_e32 v72, v72, v83
	v_cndmask_b32_e32 v97, v73, v97, vcc_lo
	v_and_b32_e32 v72, 3, v72
	v_lshl_add_u32 v97, v97, 23, 0x37800000
	v_cndmask_b32_e32 v96, v96, v72, vcc_lo
	v_and_b32_e32 v72, 0x80000000, v74
	v_lshlrev_b32_e32 v96, 21, v96
	v_or3_b32 v96, v72, v97, v96
.LBB2_283:                              ;   in Loop: Header=BB2_110 Depth=3
	s_or_b32 exec_lo, exec_lo, s26
	v_max_f32_e32 v96, v96, v96
	v_max_f32_e32 v22, v22, v22
	;; [unrolled: 1-line block ×3, first 2 shown]
.LBB2_284:                              ;   in Loop: Header=BB2_110 Depth=3
	s_andn2_saveexec_b32 s12, s12
	s_cbranch_execz .LBB2_298
; %bb.285:                              ;   in Loop: Header=BB2_110 Depth=3
	v_cmp_gt_i16_sdwa s26, v21, v119 src0_sel:BYTE_0 src1_sel:DWORD
	s_mov_b32 s25, 0
	s_and_saveexec_b32 s27, s26
	s_xor_b32 s26, exec_lo, s27
	s_cbranch_execz .LBB2_448
; %bb.286:                              ;   in Loop: Header=BB2_110 Depth=3
	v_cmp_eq_u16_sdwa s28, v21, v40 src0_sel:BYTE_0 src1_sel:DWORD
	s_mov_b32 s25, -1
	s_and_saveexec_b32 s27, s28
; %bb.287:                              ;   in Loop: Header=BB2_110 Depth=3
	s_xor_b32 s25, exec_lo, -1
; %bb.288:                              ;   in Loop: Header=BB2_110 Depth=3
	s_or_b32 exec_lo, exec_lo, s27
	s_and_b32 s25, s25, exec_lo
	s_or_saveexec_b32 s26, s26
	v_mov_b32_e32 v22, 0x7f800001
	s_xor_b32 exec_lo, exec_lo, s26
	s_cbranch_execnz .LBB2_449
.LBB2_289:                              ;   in Loop: Header=BB2_110 Depth=3
	s_or_b32 exec_lo, exec_lo, s26
	s_and_saveexec_b32 s26, s25
	s_cbranch_execz .LBB2_291
.LBB2_290:                              ;   in Loop: Header=BB2_110 Depth=3
	v_and_b32_e32 v22, 3, v21
	v_bfe_u32 v72, v21, 2, 5
	v_lshlrev_b32_e32 v73, 24, v21
	v_ffbh_u32_e32 v96, v22
	v_cmp_eq_u32_e32 vcc_lo, 0, v72
	v_min_u32_e32 v96, 32, v96
	v_subrev_nc_u32_e32 v97, 29, v96
	v_sub_nc_u32_e32 v96, 30, v96
	v_lshlrev_b32_e32 v97, v97, v21
	v_cndmask_b32_e32 v96, v72, v96, vcc_lo
	v_and_b32_e32 v97, 3, v97
	v_lshl_add_u32 v96, v96, 23, 0x37800000
	v_cndmask_b32_e32 v22, v22, v97, vcc_lo
	v_and_b32_e32 v97, 0x80000000, v73
	v_lshlrev_b32_e32 v22, 21, v22
	v_or3_b32 v22, v97, v96, v22
.LBB2_291:                              ;   in Loop: Header=BB2_110 Depth=3
	s_or_b32 exec_lo, exec_lo, s26
	v_cmp_gt_i16_sdwa s26, v83, v119 src0_sel:BYTE_0 src1_sel:DWORD
	s_mov_b32 s25, 0
	s_and_saveexec_b32 s27, s26
	s_xor_b32 s26, exec_lo, s27
	s_cbranch_execz .LBB2_450
; %bb.292:                              ;   in Loop: Header=BB2_110 Depth=3
	v_cmp_eq_u16_sdwa s28, v83, v40 src0_sel:BYTE_0 src1_sel:DWORD
	s_mov_b32 s25, -1
	s_and_saveexec_b32 s27, s28
; %bb.293:                              ;   in Loop: Header=BB2_110 Depth=3
	s_xor_b32 s25, exec_lo, -1
; %bb.294:                              ;   in Loop: Header=BB2_110 Depth=3
	s_or_b32 exec_lo, exec_lo, s27
	s_and_b32 s25, s25, exec_lo
	s_or_saveexec_b32 s26, s26
	v_mov_b32_e32 v96, 0x7f800001
	s_xor_b32 exec_lo, exec_lo, s26
	s_cbranch_execnz .LBB2_451
.LBB2_295:                              ;   in Loop: Header=BB2_110 Depth=3
	s_or_b32 exec_lo, exec_lo, s26
	s_and_saveexec_b32 s26, s25
	s_cbranch_execz .LBB2_297
.LBB2_296:                              ;   in Loop: Header=BB2_110 Depth=3
	v_and_b32_e32 v96, 3, v83
	v_bfe_u32 v73, v83, 2, 5
	v_lshlrev_b32_e32 v74, 24, v83
	v_ffbh_u32_e32 v97, v96
	v_cmp_eq_u32_e32 vcc_lo, 0, v73
	v_min_u32_e32 v97, 32, v97
	v_subrev_nc_u32_e32 v72, 29, v97
	v_sub_nc_u32_e32 v97, 30, v97
	v_lshlrev_b32_e32 v72, v72, v83
	v_cndmask_b32_e32 v97, v73, v97, vcc_lo
	v_and_b32_e32 v72, 3, v72
	v_lshl_add_u32 v97, v97, 23, 0x37800000
	v_cndmask_b32_e32 v96, v96, v72, vcc_lo
	v_and_b32_e32 v72, 0x80000000, v74
	v_lshlrev_b32_e32 v96, 21, v96
	v_or3_b32 v96, v72, v97, v96
.LBB2_297:                              ;   in Loop: Header=BB2_110 Depth=3
	s_or_b32 exec_lo, exec_lo, s26
	v_max_f32_e32 v96, v96, v96
	v_max_f32_e32 v22, v22, v22
	v_min_f32_e32 v22, v22, v96
.LBB2_298:                              ;   in Loop: Header=BB2_110 Depth=3
	s_or_b32 exec_lo, exec_lo, s12
	v_and_b32_e32 v96, 0x7f800000, v22
	v_cmp_ne_u32_e32 vcc_lo, 0x7f800000, v96
	v_mov_b32_e32 v96, 0x80
	s_and_saveexec_b32 s25, vcc_lo
	s_cbranch_execz .LBB2_306
; %bb.299:                              ;   in Loop: Header=BB2_110 Depth=3
	v_mov_b32_e32 v96, 0
	s_mov_b32 s26, exec_lo
	v_cmpx_ne_u32_e32 0, v22
	s_cbranch_execz .LBB2_305
; %bb.300:                              ;   in Loop: Header=BB2_110 Depth=3
	v_bfe_u32 v96, v22, 23, 8
	v_and_b32_e32 v97, 0x7fffff, v22
	v_sub_nc_u32_e32 v72, 0x70, v96
	v_cmp_gt_u32_e32 vcc_lo, 0x71, v96
	v_or_b32_e32 v73, 0x800000, v97
	v_cndmask_b32_e32 v72, 0, v72, vcc_lo
	v_cmp_eq_u32_e32 vcc_lo, 0, v96
	v_add_nc_u32_e32 v96, 0xffffff91, v96
	v_cndmask_b32_e64 v72, v72, 0x6f, vcc_lo
	v_cndmask_b32_e32 v97, v73, v97, vcc_lo
	v_cndmask_b32_e64 v96, v96, 0xffffff92, vcc_lo
	v_lshl_add_u32 v73, 0x200000, v72, -1
	v_lshrrev_b32_e32 v74, v72, v97
	v_lshlrev_b32_e64 v76, v72, 0x100000
	v_add_nc_u32_e32 v72, v72, v96
	v_and_b32_e32 v97, v73, v97
	v_bfe_u32 v75, v74, 21, 1
	v_cmp_eq_u32_e64 s12, v97, v76
	v_add_nc_u32_e32 v73, -1, v75
	v_cndmask_b32_e64 v97, 0, v73, s12
	v_lshrrev_b32_e32 v73, 23, v74
	s_mov_b32 s12, exec_lo
	v_add_nc_u32_e32 v97, v97, v74
	v_xor_b32_e32 v73, 1, v73
	v_and_b32_e32 v96, 0x1fffff, v97
	v_add_nc_u32_e32 v97, v96, v74
                                        ; implicit-def: $vgpr96
	v_cmpx_ne_u32_e64 v72, v73
	s_xor_b32 s12, exec_lo, s12
; %bb.301:                              ;   in Loop: Header=BB2_110 Depth=3
	v_cmp_lt_u32_e32 vcc_lo, 0xffffff, v97
	v_sub_nc_u32_e32 v96, v72, v73
	v_cndmask_b32_e64 v72, 0, 1, vcc_lo
	v_add_co_ci_u32_e64 v96, null, 0, v96, vcc_lo
	v_lshrrev_b32_e32 v97, v72, v97
; %bb.302:                              ;   in Loop: Header=BB2_110 Depth=3
	s_andn2_saveexec_b32 s12, s12
; %bb.303:                              ;   in Loop: Header=BB2_110 Depth=3
	v_bfe_u32 v96, v97, 23, 1
; %bb.304:                              ;   in Loop: Header=BB2_110 Depth=3
	s_or_b32 exec_lo, exec_lo, s12
	v_lshrrev_b32_e32 v97, 21, v97
	v_min_i32_e32 v72, 31, v96
	v_cmp_gt_i32_e32 vcc_lo, 32, v96
	v_and_b32_sdwa v22, v22, v40 dst_sel:DWORD dst_unused:UNUSED_PAD src0_sel:BYTE_3 src1_sel:DWORD
	v_lshlrev_b32_e32 v72, 2, v72
	v_cndmask_b32_e32 v97, 3, v97, vcc_lo
	v_and_b32_e32 v72, 0xfc, v72
	v_and_b32_e32 v73, 3, v97
	v_or_b32_e32 v96, v96, v97
	v_or3_b32 v22, v72, v22, v73
	v_cmp_ne_u32_e32 vcc_lo, 0, v96
	v_cndmask_b32_e32 v96, 0, v22, vcc_lo
.LBB2_305:                              ;   in Loop: Header=BB2_110 Depth=3
	s_or_b32 exec_lo, exec_lo, s26
.LBB2_306:                              ;   in Loop: Header=BB2_110 Depth=3
	s_or_b32 exec_lo, exec_lo, s25
                                        ; implicit-def: $vgpr22
	s_and_saveexec_b32 s12, s9
	s_xor_b32 s12, exec_lo, s12
	s_cbranch_execz .LBB2_320
; %bb.307:                              ;   in Loop: Header=BB2_110 Depth=3
	v_cmp_gt_i16_sdwa s26, v21, v119 src0_sel:BYTE_1 src1_sel:DWORD
	s_mov_b32 s25, 0
	s_and_saveexec_b32 s27, s26
	s_xor_b32 s26, exec_lo, s27
	s_cbranch_execz .LBB2_452
; %bb.308:                              ;   in Loop: Header=BB2_110 Depth=3
	v_cmp_eq_u16_sdwa s28, v21, v40 src0_sel:BYTE_1 src1_sel:DWORD
	s_mov_b32 s25, -1
	s_and_saveexec_b32 s27, s28
; %bb.309:                              ;   in Loop: Header=BB2_110 Depth=3
	s_xor_b32 s25, exec_lo, -1
; %bb.310:                              ;   in Loop: Header=BB2_110 Depth=3
	s_or_b32 exec_lo, exec_lo, s27
	s_and_b32 s25, s25, exec_lo
	s_or_saveexec_b32 s26, s26
	v_mov_b32_e32 v22, 0x7f800001
	s_xor_b32 exec_lo, exec_lo, s26
	s_cbranch_execnz .LBB2_453
.LBB2_311:                              ;   in Loop: Header=BB2_110 Depth=3
	s_or_b32 exec_lo, exec_lo, s26
	s_and_saveexec_b32 s26, s25
	s_cbranch_execz .LBB2_313
.LBB2_312:                              ;   in Loop: Header=BB2_110 Depth=3
	v_and_b32_sdwa v22, v41, v21 dst_sel:DWORD dst_unused:UNUSED_PAD src0_sel:DWORD src1_sel:BYTE_1
	v_and_b32_e32 v97, 3, v22
	v_bfe_u32 v74, v22, 2, 5
	v_ffbh_u32_e32 v72, v97
	v_cmp_eq_u32_e32 vcc_lo, 0, v74
	v_min_u32_e32 v72, 32, v72
	v_subrev_nc_u32_e32 v73, 29, v72
	v_sub_nc_u32_e32 v72, 30, v72
	v_lshlrev_b32_e32 v22, v73, v22
	v_lshlrev_b32_e32 v73, 16, v21
	v_cndmask_b32_e32 v72, v74, v72, vcc_lo
	v_and_b32_e32 v22, 3, v22
	v_lshl_add_u32 v72, v72, 23, 0x37800000
	v_cndmask_b32_e32 v22, v97, v22, vcc_lo
	v_and_b32_e32 v97, 0x80000000, v73
	v_lshlrev_b32_e32 v22, 21, v22
	v_or3_b32 v22, v97, v72, v22
.LBB2_313:                              ;   in Loop: Header=BB2_110 Depth=3
	s_or_b32 exec_lo, exec_lo, s26
	v_cmp_gt_i16_sdwa s26, v83, v119 src0_sel:BYTE_1 src1_sel:DWORD
	s_mov_b32 s25, 0
	s_and_saveexec_b32 s27, s26
	s_xor_b32 s26, exec_lo, s27
	s_cbranch_execz .LBB2_454
; %bb.314:                              ;   in Loop: Header=BB2_110 Depth=3
	v_cmp_eq_u16_sdwa s28, v83, v40 src0_sel:BYTE_1 src1_sel:DWORD
	s_mov_b32 s25, -1
	s_and_saveexec_b32 s27, s28
; %bb.315:                              ;   in Loop: Header=BB2_110 Depth=3
	s_xor_b32 s25, exec_lo, -1
; %bb.316:                              ;   in Loop: Header=BB2_110 Depth=3
	s_or_b32 exec_lo, exec_lo, s27
	s_and_b32 s25, s25, exec_lo
	s_or_saveexec_b32 s26, s26
	v_mov_b32_e32 v97, 0x7f800001
	s_xor_b32 exec_lo, exec_lo, s26
	s_cbranch_execnz .LBB2_455
.LBB2_317:                              ;   in Loop: Header=BB2_110 Depth=3
	s_or_b32 exec_lo, exec_lo, s26
	s_and_saveexec_b32 s26, s25
	s_cbranch_execz .LBB2_319
.LBB2_318:                              ;   in Loop: Header=BB2_110 Depth=3
	v_and_b32_sdwa v97, v41, v83 dst_sel:DWORD dst_unused:UNUSED_PAD src0_sel:DWORD src1_sel:BYTE_1
	v_and_b32_e32 v72, 3, v97
	v_bfe_u32 v75, v97, 2, 5
	v_ffbh_u32_e32 v73, v72
	v_cmp_eq_u32_e32 vcc_lo, 0, v75
	v_min_u32_e32 v73, 32, v73
	v_subrev_nc_u32_e32 v74, 29, v73
	v_sub_nc_u32_e32 v73, 30, v73
	v_lshlrev_b32_e32 v97, v74, v97
	v_lshlrev_b32_e32 v74, 16, v83
	v_cndmask_b32_e32 v73, v75, v73, vcc_lo
	v_and_b32_e32 v97, 3, v97
	v_lshl_add_u32 v73, v73, 23, 0x37800000
	v_cndmask_b32_e32 v97, v72, v97, vcc_lo
	v_and_b32_e32 v72, 0x80000000, v74
	v_lshlrev_b32_e32 v97, 21, v97
	v_or3_b32 v97, v72, v73, v97
.LBB2_319:                              ;   in Loop: Header=BB2_110 Depth=3
	s_or_b32 exec_lo, exec_lo, s26
	v_max_f32_e32 v97, v97, v97
	v_max_f32_e32 v22, v22, v22
	;; [unrolled: 1-line block ×3, first 2 shown]
	s_andn2_saveexec_b32 s12, s12
	s_cbranch_execz .LBB2_334
	s_branch .LBB2_321
.LBB2_320:                              ;   in Loop: Header=BB2_110 Depth=3
	s_andn2_saveexec_b32 s12, s12
	s_cbranch_execz .LBB2_334
.LBB2_321:                              ;   in Loop: Header=BB2_110 Depth=3
	v_cmp_gt_i16_sdwa s26, v21, v119 src0_sel:BYTE_1 src1_sel:DWORD
	s_mov_b32 s25, 0
	s_and_saveexec_b32 s27, s26
	s_xor_b32 s26, exec_lo, s27
	s_cbranch_execz .LBB2_456
; %bb.322:                              ;   in Loop: Header=BB2_110 Depth=3
	v_cmp_eq_u16_sdwa s28, v21, v40 src0_sel:BYTE_1 src1_sel:DWORD
	s_mov_b32 s25, -1
	s_and_saveexec_b32 s27, s28
; %bb.323:                              ;   in Loop: Header=BB2_110 Depth=3
	s_xor_b32 s25, exec_lo, -1
; %bb.324:                              ;   in Loop: Header=BB2_110 Depth=3
	s_or_b32 exec_lo, exec_lo, s27
	s_and_b32 s25, s25, exec_lo
	s_or_saveexec_b32 s26, s26
	v_mov_b32_e32 v22, 0x7f800001
	s_xor_b32 exec_lo, exec_lo, s26
	s_cbranch_execnz .LBB2_457
.LBB2_325:                              ;   in Loop: Header=BB2_110 Depth=3
	s_or_b32 exec_lo, exec_lo, s26
	s_and_saveexec_b32 s26, s25
	s_cbranch_execz .LBB2_327
.LBB2_326:                              ;   in Loop: Header=BB2_110 Depth=3
	v_and_b32_sdwa v22, v41, v21 dst_sel:DWORD dst_unused:UNUSED_PAD src0_sel:DWORD src1_sel:BYTE_1
	v_and_b32_e32 v97, 3, v22
	v_bfe_u32 v74, v22, 2, 5
	v_ffbh_u32_e32 v72, v97
	v_cmp_eq_u32_e32 vcc_lo, 0, v74
	v_min_u32_e32 v72, 32, v72
	v_subrev_nc_u32_e32 v73, 29, v72
	v_sub_nc_u32_e32 v72, 30, v72
	v_lshlrev_b32_e32 v22, v73, v22
	v_lshlrev_b32_e32 v73, 16, v21
	v_cndmask_b32_e32 v72, v74, v72, vcc_lo
	v_and_b32_e32 v22, 3, v22
	v_lshl_add_u32 v72, v72, 23, 0x37800000
	v_cndmask_b32_e32 v22, v97, v22, vcc_lo
	v_and_b32_e32 v97, 0x80000000, v73
	v_lshlrev_b32_e32 v22, 21, v22
	v_or3_b32 v22, v97, v72, v22
.LBB2_327:                              ;   in Loop: Header=BB2_110 Depth=3
	s_or_b32 exec_lo, exec_lo, s26
	v_cmp_gt_i16_sdwa s26, v83, v119 src0_sel:BYTE_1 src1_sel:DWORD
	s_mov_b32 s25, 0
	s_and_saveexec_b32 s27, s26
	s_xor_b32 s26, exec_lo, s27
	s_cbranch_execz .LBB2_458
; %bb.328:                              ;   in Loop: Header=BB2_110 Depth=3
	v_cmp_eq_u16_sdwa s28, v83, v40 src0_sel:BYTE_1 src1_sel:DWORD
	s_mov_b32 s25, -1
	s_and_saveexec_b32 s27, s28
; %bb.329:                              ;   in Loop: Header=BB2_110 Depth=3
	s_xor_b32 s25, exec_lo, -1
; %bb.330:                              ;   in Loop: Header=BB2_110 Depth=3
	s_or_b32 exec_lo, exec_lo, s27
	s_and_b32 s25, s25, exec_lo
	s_or_saveexec_b32 s26, s26
	v_mov_b32_e32 v97, 0x7f800001
	s_xor_b32 exec_lo, exec_lo, s26
	s_cbranch_execnz .LBB2_459
.LBB2_331:                              ;   in Loop: Header=BB2_110 Depth=3
	s_or_b32 exec_lo, exec_lo, s26
	s_and_saveexec_b32 s26, s25
	s_cbranch_execz .LBB2_333
.LBB2_332:                              ;   in Loop: Header=BB2_110 Depth=3
	v_and_b32_sdwa v97, v41, v83 dst_sel:DWORD dst_unused:UNUSED_PAD src0_sel:DWORD src1_sel:BYTE_1
	v_and_b32_e32 v72, 3, v97
	v_bfe_u32 v75, v97, 2, 5
	v_ffbh_u32_e32 v73, v72
	v_cmp_eq_u32_e32 vcc_lo, 0, v75
	v_min_u32_e32 v73, 32, v73
	v_subrev_nc_u32_e32 v74, 29, v73
	v_sub_nc_u32_e32 v73, 30, v73
	v_lshlrev_b32_e32 v97, v74, v97
	v_lshlrev_b32_e32 v74, 16, v83
	v_cndmask_b32_e32 v73, v75, v73, vcc_lo
	v_and_b32_e32 v97, 3, v97
	v_lshl_add_u32 v73, v73, 23, 0x37800000
	v_cndmask_b32_e32 v97, v72, v97, vcc_lo
	v_and_b32_e32 v72, 0x80000000, v74
	v_lshlrev_b32_e32 v97, 21, v97
	v_or3_b32 v97, v72, v73, v97
.LBB2_333:                              ;   in Loop: Header=BB2_110 Depth=3
	s_or_b32 exec_lo, exec_lo, s26
	v_max_f32_e32 v97, v97, v97
	v_max_f32_e32 v22, v22, v22
	v_min_f32_e32 v22, v22, v97
.LBB2_334:                              ;   in Loop: Header=BB2_110 Depth=3
	s_or_b32 exec_lo, exec_lo, s12
	v_and_b32_e32 v97, 0x7f800000, v22
	v_cmp_ne_u32_e32 vcc_lo, 0x7f800000, v97
	v_mov_b32_e32 v97, 0x8000
	s_and_saveexec_b32 s25, vcc_lo
	s_cbranch_execz .LBB2_342
; %bb.335:                              ;   in Loop: Header=BB2_110 Depth=3
	v_mov_b32_e32 v97, 0
	s_mov_b32 s26, exec_lo
	v_cmpx_ne_u32_e32 0, v22
	s_cbranch_execz .LBB2_341
; %bb.336:                              ;   in Loop: Header=BB2_110 Depth=3
	v_bfe_u32 v97, v22, 23, 8
	v_and_b32_e32 v72, 0x7fffff, v22
	v_sub_nc_u32_e32 v73, 0x70, v97
	v_cmp_gt_u32_e32 vcc_lo, 0x71, v97
	v_or_b32_e32 v74, 0x800000, v72
	v_cndmask_b32_e32 v73, 0, v73, vcc_lo
	v_cmp_eq_u32_e32 vcc_lo, 0, v97
	v_add_nc_u32_e32 v97, 0xffffff91, v97
	v_cndmask_b32_e64 v73, v73, 0x6f, vcc_lo
	v_cndmask_b32_e32 v72, v74, v72, vcc_lo
	v_cndmask_b32_e64 v97, v97, 0xffffff92, vcc_lo
	v_lshl_add_u32 v74, 0x200000, v73, -1
	v_lshrrev_b32_e32 v75, v73, v72
	v_lshlrev_b32_e64 v77, v73, 0x100000
	v_add_nc_u32_e32 v73, v73, v97
	v_and_b32_e32 v72, v74, v72
	v_bfe_u32 v76, v75, 21, 1
	v_cmp_eq_u32_e64 s12, v72, v77
	v_add_nc_u32_e32 v74, -1, v76
	v_cndmask_b32_e64 v72, 0, v74, s12
	v_lshrrev_b32_e32 v74, 23, v75
	s_mov_b32 s12, exec_lo
	v_add_nc_u32_e32 v72, v72, v75
	v_xor_b32_e32 v74, 1, v74
	v_and_b32_e32 v97, 0x1fffff, v72
	v_add_nc_u32_e32 v72, v97, v75
                                        ; implicit-def: $vgpr97
	v_cmpx_ne_u32_e64 v73, v74
	s_xor_b32 s12, exec_lo, s12
; %bb.337:                              ;   in Loop: Header=BB2_110 Depth=3
	v_cmp_lt_u32_e32 vcc_lo, 0xffffff, v72
	v_sub_nc_u32_e32 v97, v73, v74
	v_cndmask_b32_e64 v73, 0, 1, vcc_lo
	v_add_co_ci_u32_e64 v97, null, 0, v97, vcc_lo
	v_lshrrev_b32_e32 v72, v73, v72
; %bb.338:                              ;   in Loop: Header=BB2_110 Depth=3
	s_andn2_saveexec_b32 s12, s12
; %bb.339:                              ;   in Loop: Header=BB2_110 Depth=3
	v_bfe_u32 v97, v72, 23, 1
; %bb.340:                              ;   in Loop: Header=BB2_110 Depth=3
	s_or_b32 exec_lo, exec_lo, s12
	v_lshrrev_b32_e32 v72, 21, v72
	v_min_i32_e32 v73, 31, v97
	v_cmp_gt_i32_e32 vcc_lo, 32, v97
	v_and_b32_sdwa v22, v22, v40 dst_sel:DWORD dst_unused:UNUSED_PAD src0_sel:BYTE_3 src1_sel:DWORD
	v_lshlrev_b32_e32 v73, 2, v73
	v_cndmask_b32_e32 v72, 3, v72, vcc_lo
	v_and_b32_e32 v73, 0xfc, v73
	v_and_b32_e32 v74, 3, v72
	v_or_b32_e32 v97, v97, v72
	v_or3_b32 v22, v22, v73, v74
	v_cmp_ne_u32_e32 vcc_lo, 0, v97
	v_lshlrev_b32_e32 v22, 8, v22
	v_cndmask_b32_e32 v97, 0, v22, vcc_lo
.LBB2_341:                              ;   in Loop: Header=BB2_110 Depth=3
	s_or_b32 exec_lo, exec_lo, s26
.LBB2_342:                              ;   in Loop: Header=BB2_110 Depth=3
	s_or_b32 exec_lo, exec_lo, s25
                                        ; implicit-def: $vgpr22
	s_and_saveexec_b32 s12, s9
	s_xor_b32 s12, exec_lo, s12
	s_cbranch_execz .LBB2_356
; %bb.343:                              ;   in Loop: Header=BB2_110 Depth=3
	v_and_b32_sdwa v72, v21, v42 dst_sel:DWORD dst_unused:UNUSED_PAD src0_sel:WORD_1 src1_sel:DWORD
	s_mov_b32 s25, 0
	s_mov_b32 s26, exec_lo
	v_cmpx_lt_i16_e32 0x7f, v72
	s_xor_b32 s26, exec_lo, s26
	s_cbranch_execz .LBB2_460
; %bb.344:                              ;   in Loop: Header=BB2_110 Depth=3
	s_mov_b32 s25, -1
	s_mov_b32 s27, exec_lo
	v_cmpx_eq_u16_e32 0x80, v72
; %bb.345:                              ;   in Loop: Header=BB2_110 Depth=3
	s_xor_b32 s25, exec_lo, -1
; %bb.346:                              ;   in Loop: Header=BB2_110 Depth=3
	s_or_b32 exec_lo, exec_lo, s27
	s_and_b32 s25, s25, exec_lo
                                        ; implicit-def: $vgpr72
	s_or_saveexec_b32 s26, s26
	v_mov_b32_e32 v22, 0x7f800001
	s_xor_b32 exec_lo, exec_lo, s26
	s_cbranch_execnz .LBB2_461
.LBB2_347:                              ;   in Loop: Header=BB2_110 Depth=3
	s_or_b32 exec_lo, exec_lo, s26
	s_and_saveexec_b32 s26, s25
	s_cbranch_execz .LBB2_349
.LBB2_348:                              ;   in Loop: Header=BB2_110 Depth=3
	v_bfe_u32 v22, v21, 16, 2
	v_bfe_u32 v74, v21, 18, 5
	v_lshlrev_b32_sdwa v75, v43, v21 dst_sel:DWORD dst_unused:UNUSED_PAD src0_sel:DWORD src1_sel:WORD_1
	v_ffbh_u32_e32 v72, v22
	v_cmp_eq_u32_e32 vcc_lo, 0, v74
	v_min_u32_e32 v72, 32, v72
	v_subrev_nc_u32_e32 v73, 29, v72
	v_sub_nc_u32_e32 v72, 30, v72
	v_lshlrev_b32_sdwa v73, v73, v21 dst_sel:DWORD dst_unused:UNUSED_PAD src0_sel:DWORD src1_sel:WORD_1
	v_cndmask_b32_e32 v72, v74, v72, vcc_lo
	v_and_b32_e32 v73, 3, v73
	v_lshl_add_u32 v72, v72, 23, 0x37800000
	v_cndmask_b32_e32 v22, v22, v73, vcc_lo
	v_and_b32_e32 v73, 0x80000000, v75
	v_lshlrev_b32_e32 v22, 21, v22
	v_or3_b32 v22, v73, v72, v22
.LBB2_349:                              ;   in Loop: Header=BB2_110 Depth=3
	s_or_b32 exec_lo, exec_lo, s26
	v_and_b32_sdwa v73, v83, v42 dst_sel:DWORD dst_unused:UNUSED_PAD src0_sel:WORD_1 src1_sel:DWORD
	s_mov_b32 s25, 0
	s_mov_b32 s26, exec_lo
	v_cmpx_lt_i16_e32 0x7f, v73
	s_xor_b32 s26, exec_lo, s26
	s_cbranch_execz .LBB2_462
; %bb.350:                              ;   in Loop: Header=BB2_110 Depth=3
	s_mov_b32 s25, -1
	s_mov_b32 s27, exec_lo
	v_cmpx_eq_u16_e32 0x80, v73
; %bb.351:                              ;   in Loop: Header=BB2_110 Depth=3
	s_xor_b32 s25, exec_lo, -1
; %bb.352:                              ;   in Loop: Header=BB2_110 Depth=3
	s_or_b32 exec_lo, exec_lo, s27
	s_and_b32 s25, s25, exec_lo
                                        ; implicit-def: $vgpr73
	s_or_saveexec_b32 s26, s26
	v_mov_b32_e32 v72, 0x7f800001
	s_xor_b32 exec_lo, exec_lo, s26
	s_cbranch_execnz .LBB2_463
.LBB2_353:                              ;   in Loop: Header=BB2_110 Depth=3
	s_or_b32 exec_lo, exec_lo, s26
	s_and_saveexec_b32 s26, s25
	s_cbranch_execz .LBB2_355
.LBB2_354:                              ;   in Loop: Header=BB2_110 Depth=3
	v_bfe_u32 v72, v83, 16, 2
	v_bfe_u32 v75, v83, 18, 5
	v_lshlrev_b32_sdwa v76, v43, v83 dst_sel:DWORD dst_unused:UNUSED_PAD src0_sel:DWORD src1_sel:WORD_1
	v_ffbh_u32_e32 v73, v72
	v_cmp_eq_u32_e32 vcc_lo, 0, v75
	v_min_u32_e32 v73, 32, v73
	v_subrev_nc_u32_e32 v74, 29, v73
	v_sub_nc_u32_e32 v73, 30, v73
	v_lshlrev_b32_sdwa v74, v74, v83 dst_sel:DWORD dst_unused:UNUSED_PAD src0_sel:DWORD src1_sel:WORD_1
	v_cndmask_b32_e32 v73, v75, v73, vcc_lo
	v_and_b32_e32 v74, 3, v74
	v_lshl_add_u32 v73, v73, 23, 0x37800000
	v_cndmask_b32_e32 v72, v72, v74, vcc_lo
	v_and_b32_e32 v74, 0x80000000, v76
	v_lshlrev_b32_e32 v72, 21, v72
	v_or3_b32 v72, v74, v73, v72
.LBB2_355:                              ;   in Loop: Header=BB2_110 Depth=3
	s_or_b32 exec_lo, exec_lo, s26
	v_max_f32_e32 v72, v72, v72
	v_max_f32_e32 v22, v22, v22
	v_max_f32_e32 v22, v22, v72
	s_andn2_saveexec_b32 s12, s12
	s_cbranch_execz .LBB2_370
	s_branch .LBB2_357
.LBB2_356:                              ;   in Loop: Header=BB2_110 Depth=3
	s_andn2_saveexec_b32 s12, s12
	s_cbranch_execz .LBB2_370
.LBB2_357:                              ;   in Loop: Header=BB2_110 Depth=3
	v_and_b32_sdwa v72, v21, v42 dst_sel:DWORD dst_unused:UNUSED_PAD src0_sel:WORD_1 src1_sel:DWORD
	s_mov_b32 s25, 0
	s_mov_b32 s26, exec_lo
	v_cmpx_lt_i16_e32 0x7f, v72
	s_xor_b32 s26, exec_lo, s26
	s_cbranch_execz .LBB2_464
; %bb.358:                              ;   in Loop: Header=BB2_110 Depth=3
	s_mov_b32 s25, -1
	s_mov_b32 s27, exec_lo
	v_cmpx_eq_u16_e32 0x80, v72
; %bb.359:                              ;   in Loop: Header=BB2_110 Depth=3
	s_xor_b32 s25, exec_lo, -1
; %bb.360:                              ;   in Loop: Header=BB2_110 Depth=3
	s_or_b32 exec_lo, exec_lo, s27
	s_and_b32 s25, s25, exec_lo
                                        ; implicit-def: $vgpr72
	s_or_saveexec_b32 s26, s26
	v_mov_b32_e32 v22, 0x7f800001
	s_xor_b32 exec_lo, exec_lo, s26
	s_cbranch_execnz .LBB2_465
.LBB2_361:                              ;   in Loop: Header=BB2_110 Depth=3
	s_or_b32 exec_lo, exec_lo, s26
	s_and_saveexec_b32 s26, s25
	s_cbranch_execz .LBB2_363
.LBB2_362:                              ;   in Loop: Header=BB2_110 Depth=3
	v_bfe_u32 v22, v21, 16, 2
	v_bfe_u32 v74, v21, 18, 5
	v_lshlrev_b32_sdwa v75, v43, v21 dst_sel:DWORD dst_unused:UNUSED_PAD src0_sel:DWORD src1_sel:WORD_1
	v_ffbh_u32_e32 v72, v22
	v_cmp_eq_u32_e32 vcc_lo, 0, v74
	v_min_u32_e32 v72, 32, v72
	v_subrev_nc_u32_e32 v73, 29, v72
	v_sub_nc_u32_e32 v72, 30, v72
	v_lshlrev_b32_sdwa v73, v73, v21 dst_sel:DWORD dst_unused:UNUSED_PAD src0_sel:DWORD src1_sel:WORD_1
	v_cndmask_b32_e32 v72, v74, v72, vcc_lo
	v_and_b32_e32 v73, 3, v73
	v_lshl_add_u32 v72, v72, 23, 0x37800000
	v_cndmask_b32_e32 v22, v22, v73, vcc_lo
	v_and_b32_e32 v73, 0x80000000, v75
	v_lshlrev_b32_e32 v22, 21, v22
	v_or3_b32 v22, v73, v72, v22
.LBB2_363:                              ;   in Loop: Header=BB2_110 Depth=3
	s_or_b32 exec_lo, exec_lo, s26
	v_and_b32_sdwa v73, v83, v42 dst_sel:DWORD dst_unused:UNUSED_PAD src0_sel:WORD_1 src1_sel:DWORD
	s_mov_b32 s25, 0
	s_mov_b32 s26, exec_lo
	v_cmpx_lt_i16_e32 0x7f, v73
	s_xor_b32 s26, exec_lo, s26
	s_cbranch_execz .LBB2_466
; %bb.364:                              ;   in Loop: Header=BB2_110 Depth=3
	s_mov_b32 s25, -1
	s_mov_b32 s27, exec_lo
	v_cmpx_eq_u16_e32 0x80, v73
; %bb.365:                              ;   in Loop: Header=BB2_110 Depth=3
	s_xor_b32 s25, exec_lo, -1
; %bb.366:                              ;   in Loop: Header=BB2_110 Depth=3
	s_or_b32 exec_lo, exec_lo, s27
	s_and_b32 s25, s25, exec_lo
                                        ; implicit-def: $vgpr73
	s_or_saveexec_b32 s26, s26
	v_mov_b32_e32 v72, 0x7f800001
	s_xor_b32 exec_lo, exec_lo, s26
	s_cbranch_execnz .LBB2_467
.LBB2_367:                              ;   in Loop: Header=BB2_110 Depth=3
	s_or_b32 exec_lo, exec_lo, s26
	s_and_saveexec_b32 s26, s25
	s_cbranch_execz .LBB2_369
.LBB2_368:                              ;   in Loop: Header=BB2_110 Depth=3
	v_bfe_u32 v72, v83, 16, 2
	v_bfe_u32 v75, v83, 18, 5
	v_lshlrev_b32_sdwa v76, v43, v83 dst_sel:DWORD dst_unused:UNUSED_PAD src0_sel:DWORD src1_sel:WORD_1
	v_ffbh_u32_e32 v73, v72
	v_cmp_eq_u32_e32 vcc_lo, 0, v75
	v_min_u32_e32 v73, 32, v73
	v_subrev_nc_u32_e32 v74, 29, v73
	v_sub_nc_u32_e32 v73, 30, v73
	v_lshlrev_b32_sdwa v74, v74, v83 dst_sel:DWORD dst_unused:UNUSED_PAD src0_sel:DWORD src1_sel:WORD_1
	v_cndmask_b32_e32 v73, v75, v73, vcc_lo
	v_and_b32_e32 v74, 3, v74
	v_lshl_add_u32 v73, v73, 23, 0x37800000
	v_cndmask_b32_e32 v72, v72, v74, vcc_lo
	v_and_b32_e32 v74, 0x80000000, v76
	v_lshlrev_b32_e32 v72, 21, v72
	v_or3_b32 v72, v74, v73, v72
.LBB2_369:                              ;   in Loop: Header=BB2_110 Depth=3
	s_or_b32 exec_lo, exec_lo, s26
	v_max_f32_e32 v72, v72, v72
	v_max_f32_e32 v22, v22, v22
	v_min_f32_e32 v22, v22, v72
.LBB2_370:                              ;   in Loop: Header=BB2_110 Depth=3
	s_or_b32 exec_lo, exec_lo, s12
	v_and_b32_e32 v72, 0x7f800000, v22
	v_cmp_ne_u32_e32 vcc_lo, 0x7f800000, v72
	v_mov_b32_e32 v72, 0x80
	s_and_saveexec_b32 s25, vcc_lo
	s_cbranch_execz .LBB2_378
; %bb.371:                              ;   in Loop: Header=BB2_110 Depth=3
	v_mov_b32_e32 v72, 0
	s_mov_b32 s26, exec_lo
	v_cmpx_ne_u32_e32 0, v22
	s_cbranch_execz .LBB2_377
; %bb.372:                              ;   in Loop: Header=BB2_110 Depth=3
	v_bfe_u32 v72, v22, 23, 8
	v_and_b32_e32 v73, 0x7fffff, v22
	v_sub_nc_u32_e32 v74, 0x70, v72
	v_cmp_gt_u32_e32 vcc_lo, 0x71, v72
	v_or_b32_e32 v75, 0x800000, v73
	v_cndmask_b32_e32 v74, 0, v74, vcc_lo
	v_cmp_eq_u32_e32 vcc_lo, 0, v72
	v_add_nc_u32_e32 v72, 0xffffff91, v72
	v_cndmask_b32_e64 v74, v74, 0x6f, vcc_lo
	v_cndmask_b32_e32 v73, v75, v73, vcc_lo
	v_cndmask_b32_e64 v72, v72, 0xffffff92, vcc_lo
	v_lshl_add_u32 v75, 0x200000, v74, -1
	v_lshrrev_b32_e32 v76, v74, v73
	v_lshlrev_b32_e64 v78, v74, 0x100000
	v_add_nc_u32_e32 v74, v74, v72
	v_and_b32_e32 v73, v75, v73
	v_bfe_u32 v77, v76, 21, 1
	v_cmp_eq_u32_e64 s12, v73, v78
	v_add_nc_u32_e32 v75, -1, v77
	v_cndmask_b32_e64 v73, 0, v75, s12
	v_lshrrev_b32_e32 v75, 23, v76
	s_mov_b32 s12, exec_lo
	v_add_nc_u32_e32 v73, v73, v76
	v_xor_b32_e32 v75, 1, v75
	v_and_b32_e32 v72, 0x1fffff, v73
	v_add_nc_u32_e32 v73, v72, v76
                                        ; implicit-def: $vgpr72
	v_cmpx_ne_u32_e64 v74, v75
	s_xor_b32 s12, exec_lo, s12
; %bb.373:                              ;   in Loop: Header=BB2_110 Depth=3
	v_cmp_lt_u32_e32 vcc_lo, 0xffffff, v73
	v_sub_nc_u32_e32 v72, v74, v75
	v_cndmask_b32_e64 v74, 0, 1, vcc_lo
	v_add_co_ci_u32_e64 v72, null, 0, v72, vcc_lo
	v_lshrrev_b32_e32 v73, v74, v73
; %bb.374:                              ;   in Loop: Header=BB2_110 Depth=3
	s_andn2_saveexec_b32 s12, s12
; %bb.375:                              ;   in Loop: Header=BB2_110 Depth=3
	v_bfe_u32 v72, v73, 23, 1
; %bb.376:                              ;   in Loop: Header=BB2_110 Depth=3
	s_or_b32 exec_lo, exec_lo, s12
	v_lshrrev_b32_e32 v73, 21, v73
	v_min_i32_e32 v74, 31, v72
	v_cmp_gt_i32_e32 vcc_lo, 32, v72
	v_and_b32_sdwa v22, v22, v40 dst_sel:DWORD dst_unused:UNUSED_PAD src0_sel:BYTE_3 src1_sel:DWORD
	v_lshlrev_b32_e32 v74, 2, v74
	v_cndmask_b32_e32 v73, 3, v73, vcc_lo
	v_and_b32_e32 v74, 0xfc, v74
	v_and_b32_e32 v75, 3, v73
	v_or_b32_e32 v72, v72, v73
	v_or3_b32 v22, v74, v22, v75
	v_cmp_ne_u32_e32 vcc_lo, 0, v72
	v_cndmask_b32_e32 v72, 0, v22, vcc_lo
.LBB2_377:                              ;   in Loop: Header=BB2_110 Depth=3
	s_or_b32 exec_lo, exec_lo, s26
.LBB2_378:                              ;   in Loop: Header=BB2_110 Depth=3
	s_or_b32 exec_lo, exec_lo, s25
                                        ; implicit-def: $vgpr73
	s_and_saveexec_b32 s12, s9
	s_xor_b32 s12, exec_lo, s12
	s_cbranch_execz .LBB2_392
; %bb.379:                              ;   in Loop: Header=BB2_110 Depth=3
	v_cmp_gt_i16_sdwa s26, v21, v119 src0_sel:BYTE_3 src1_sel:DWORD
	s_mov_b32 s25, 0
	s_and_saveexec_b32 s27, s26
	s_xor_b32 s26, exec_lo, s27
	s_cbranch_execz .LBB2_468
; %bb.380:                              ;   in Loop: Header=BB2_110 Depth=3
	v_cmp_eq_u16_sdwa s28, v21, v40 src0_sel:BYTE_3 src1_sel:DWORD
	s_mov_b32 s25, -1
	s_and_saveexec_b32 s27, s28
; %bb.381:                              ;   in Loop: Header=BB2_110 Depth=3
	s_xor_b32 s25, exec_lo, -1
; %bb.382:                              ;   in Loop: Header=BB2_110 Depth=3
	s_or_b32 exec_lo, exec_lo, s27
	s_and_b32 s25, s25, exec_lo
	s_or_saveexec_b32 s26, s26
	v_mov_b32_e32 v22, 0x7f800001
	s_xor_b32 exec_lo, exec_lo, s26
	s_cbranch_execnz .LBB2_469
.LBB2_383:                              ;   in Loop: Header=BB2_110 Depth=3
	s_or_b32 exec_lo, exec_lo, s26
	s_and_saveexec_b32 s26, s25
	s_cbranch_execz .LBB2_385
.LBB2_384:                              ;   in Loop: Header=BB2_110 Depth=3
	v_bfe_u32 v22, v21, 24, 2
	v_bfe_u32 v75, v21, 26, 5
	v_ffbh_u32_e32 v73, v22
	v_cmp_eq_u32_e32 vcc_lo, 0, v75
	v_min_u32_e32 v73, 32, v73
	v_subrev_nc_u32_e32 v74, 29, v73
	v_sub_nc_u32_e32 v73, 30, v73
	v_lshlrev_b32_sdwa v74, v74, v21 dst_sel:DWORD dst_unused:UNUSED_PAD src0_sel:DWORD src1_sel:BYTE_3
	v_cndmask_b32_e32 v73, v75, v73, vcc_lo
	v_and_b32_e32 v21, 0x80000000, v21
	v_and_b32_e32 v74, 3, v74
	v_lshl_add_u32 v73, v73, 23, 0x37800000
	v_cndmask_b32_e32 v22, v22, v74, vcc_lo
	v_lshlrev_b32_e32 v22, 21, v22
	v_or3_b32 v22, v21, v73, v22
.LBB2_385:                              ;   in Loop: Header=BB2_110 Depth=3
	s_or_b32 exec_lo, exec_lo, s26
	v_cmp_gt_i16_sdwa s26, v83, v119 src0_sel:BYTE_3 src1_sel:DWORD
	s_mov_b32 s25, 0
	s_and_saveexec_b32 s27, s26
	s_xor_b32 s26, exec_lo, s27
	s_cbranch_execz .LBB2_470
; %bb.386:                              ;   in Loop: Header=BB2_110 Depth=3
	v_cmp_eq_u16_sdwa s28, v83, v40 src0_sel:BYTE_3 src1_sel:DWORD
	s_mov_b32 s25, -1
	s_and_saveexec_b32 s27, s28
; %bb.387:                              ;   in Loop: Header=BB2_110 Depth=3
	s_xor_b32 s25, exec_lo, -1
; %bb.388:                              ;   in Loop: Header=BB2_110 Depth=3
	s_or_b32 exec_lo, exec_lo, s27
	s_and_b32 s25, s25, exec_lo
	s_or_saveexec_b32 s26, s26
	v_mov_b32_e32 v21, 0x7f800001
	s_xor_b32 exec_lo, exec_lo, s26
	s_cbranch_execnz .LBB2_471
.LBB2_389:                              ;   in Loop: Header=BB2_110 Depth=3
	s_or_b32 exec_lo, exec_lo, s26
	s_and_saveexec_b32 s26, s25
	s_cbranch_execz .LBB2_391
.LBB2_390:                              ;   in Loop: Header=BB2_110 Depth=3
	v_bfe_u32 v21, v83, 24, 2
	v_bfe_u32 v75, v83, 26, 5
	v_ffbh_u32_e32 v73, v21
	v_cmp_eq_u32_e32 vcc_lo, 0, v75
	v_min_u32_e32 v73, 32, v73
	v_subrev_nc_u32_e32 v74, 29, v73
	v_sub_nc_u32_e32 v73, 30, v73
	v_lshlrev_b32_sdwa v74, v74, v83 dst_sel:DWORD dst_unused:UNUSED_PAD src0_sel:DWORD src1_sel:BYTE_3
	v_cndmask_b32_e32 v73, v75, v73, vcc_lo
	v_and_b32_e32 v83, 0x80000000, v83
	v_and_b32_e32 v74, 3, v74
	v_lshl_add_u32 v73, v73, 23, 0x37800000
	v_cndmask_b32_e32 v21, v21, v74, vcc_lo
	v_lshlrev_b32_e32 v21, 21, v21
	v_or3_b32 v21, v83, v73, v21
.LBB2_391:                              ;   in Loop: Header=BB2_110 Depth=3
	s_or_b32 exec_lo, exec_lo, s26
	v_max_f32_e32 v21, v21, v21
	v_max_f32_e32 v22, v22, v22
                                        ; implicit-def: $vgpr83
	v_max_f32_e32 v73, v22, v21
                                        ; implicit-def: $vgpr21_vgpr22
	s_andn2_saveexec_b32 s12, s12
	s_cbranch_execz .LBB2_406
	s_branch .LBB2_393
.LBB2_392:                              ;   in Loop: Header=BB2_110 Depth=3
	s_andn2_saveexec_b32 s12, s12
	s_cbranch_execz .LBB2_406
.LBB2_393:                              ;   in Loop: Header=BB2_110 Depth=3
	v_cmp_gt_i16_sdwa s26, v21, v119 src0_sel:BYTE_3 src1_sel:DWORD
	s_mov_b32 s25, 0
	s_and_saveexec_b32 s27, s26
	s_xor_b32 s26, exec_lo, s27
	s_cbranch_execz .LBB2_472
; %bb.394:                              ;   in Loop: Header=BB2_110 Depth=3
	v_cmp_eq_u16_sdwa s28, v21, v40 src0_sel:BYTE_3 src1_sel:DWORD
	s_mov_b32 s25, -1
	s_and_saveexec_b32 s27, s28
; %bb.395:                              ;   in Loop: Header=BB2_110 Depth=3
	s_xor_b32 s25, exec_lo, -1
; %bb.396:                              ;   in Loop: Header=BB2_110 Depth=3
	s_or_b32 exec_lo, exec_lo, s27
	s_and_b32 s25, s25, exec_lo
	s_or_saveexec_b32 s26, s26
	v_mov_b32_e32 v22, 0x7f800001
	s_xor_b32 exec_lo, exec_lo, s26
	s_cbranch_execnz .LBB2_473
.LBB2_397:                              ;   in Loop: Header=BB2_110 Depth=3
	s_or_b32 exec_lo, exec_lo, s26
	s_and_saveexec_b32 s26, s25
	s_cbranch_execz .LBB2_399
.LBB2_398:                              ;   in Loop: Header=BB2_110 Depth=3
	v_bfe_u32 v22, v21, 24, 2
	v_bfe_u32 v75, v21, 26, 5
	v_ffbh_u32_e32 v73, v22
	v_cmp_eq_u32_e32 vcc_lo, 0, v75
	v_min_u32_e32 v73, 32, v73
	v_subrev_nc_u32_e32 v74, 29, v73
	v_sub_nc_u32_e32 v73, 30, v73
	v_lshlrev_b32_sdwa v74, v74, v21 dst_sel:DWORD dst_unused:UNUSED_PAD src0_sel:DWORD src1_sel:BYTE_3
	v_cndmask_b32_e32 v73, v75, v73, vcc_lo
	v_and_b32_e32 v21, 0x80000000, v21
	v_and_b32_e32 v74, 3, v74
	v_lshl_add_u32 v73, v73, 23, 0x37800000
	v_cndmask_b32_e32 v22, v22, v74, vcc_lo
	v_lshlrev_b32_e32 v22, 21, v22
	v_or3_b32 v22, v21, v73, v22
.LBB2_399:                              ;   in Loop: Header=BB2_110 Depth=3
	s_or_b32 exec_lo, exec_lo, s26
	v_cmp_gt_i16_sdwa s26, v83, v119 src0_sel:BYTE_3 src1_sel:DWORD
	s_mov_b32 s25, 0
	s_and_saveexec_b32 s27, s26
	s_xor_b32 s26, exec_lo, s27
	s_cbranch_execz .LBB2_474
; %bb.400:                              ;   in Loop: Header=BB2_110 Depth=3
	v_cmp_eq_u16_sdwa s28, v83, v40 src0_sel:BYTE_3 src1_sel:DWORD
	s_mov_b32 s25, -1
	s_and_saveexec_b32 s27, s28
; %bb.401:                              ;   in Loop: Header=BB2_110 Depth=3
	s_xor_b32 s25, exec_lo, -1
; %bb.402:                              ;   in Loop: Header=BB2_110 Depth=3
	s_or_b32 exec_lo, exec_lo, s27
	s_and_b32 s25, s25, exec_lo
	s_or_saveexec_b32 s26, s26
	v_mov_b32_e32 v21, 0x7f800001
	s_xor_b32 exec_lo, exec_lo, s26
	s_cbranch_execnz .LBB2_475
.LBB2_403:                              ;   in Loop: Header=BB2_110 Depth=3
	s_or_b32 exec_lo, exec_lo, s26
	s_and_saveexec_b32 s26, s25
	s_cbranch_execz .LBB2_405
.LBB2_404:                              ;   in Loop: Header=BB2_110 Depth=3
	v_bfe_u32 v21, v83, 24, 2
	v_bfe_u32 v75, v83, 26, 5
	v_ffbh_u32_e32 v73, v21
	v_cmp_eq_u32_e32 vcc_lo, 0, v75
	v_min_u32_e32 v73, 32, v73
	v_subrev_nc_u32_e32 v74, 29, v73
	v_sub_nc_u32_e32 v73, 30, v73
	v_lshlrev_b32_sdwa v74, v74, v83 dst_sel:DWORD dst_unused:UNUSED_PAD src0_sel:DWORD src1_sel:BYTE_3
	v_cndmask_b32_e32 v73, v75, v73, vcc_lo
	v_and_b32_e32 v83, 0x80000000, v83
	v_and_b32_e32 v74, 3, v74
	v_lshl_add_u32 v73, v73, 23, 0x37800000
	v_cndmask_b32_e32 v21, v21, v74, vcc_lo
	v_lshlrev_b32_e32 v21, 21, v21
	v_or3_b32 v21, v83, v73, v21
.LBB2_405:                              ;   in Loop: Header=BB2_110 Depth=3
	s_or_b32 exec_lo, exec_lo, s26
	v_max_f32_e32 v21, v21, v21
	v_max_f32_e32 v22, v22, v22
	v_min_f32_e32 v73, v22, v21
.LBB2_406:                              ;   in Loop: Header=BB2_110 Depth=3
	s_or_b32 exec_lo, exec_lo, s12
	v_and_b32_e32 v21, 0x7f800000, v73
	v_cmp_ne_u32_e32 vcc_lo, 0x7f800000, v21
	v_mov_b32_e32 v21, 0x8000
	s_and_saveexec_b32 s25, vcc_lo
	s_cbranch_execz .LBB2_109
; %bb.407:                              ;   in Loop: Header=BB2_110 Depth=3
	v_mov_b32_e32 v21, 0
	s_mov_b32 s26, exec_lo
	v_cmpx_ne_u32_e32 0, v73
	s_cbranch_execz .LBB2_108
; %bb.408:                              ;   in Loop: Header=BB2_110 Depth=3
	v_bfe_u32 v21, v73, 23, 8
	v_and_b32_e32 v22, 0x7fffff, v73
	v_sub_nc_u32_e32 v83, 0x70, v21
	v_cmp_gt_u32_e32 vcc_lo, 0x71, v21
	v_or_b32_e32 v74, 0x800000, v22
	v_cndmask_b32_e32 v83, 0, v83, vcc_lo
	v_cmp_eq_u32_e32 vcc_lo, 0, v21
	v_add_nc_u32_e32 v21, 0xffffff91, v21
	v_cndmask_b32_e64 v83, v83, 0x6f, vcc_lo
	v_cndmask_b32_e32 v22, v74, v22, vcc_lo
	v_cndmask_b32_e64 v21, v21, 0xffffff92, vcc_lo
	v_lshl_add_u32 v74, 0x200000, v83, -1
	v_lshrrev_b32_e32 v75, v83, v22
	v_lshlrev_b32_e64 v77, v83, 0x100000
	v_add_nc_u32_e32 v83, v83, v21
	v_and_b32_e32 v22, v74, v22
	v_bfe_u32 v76, v75, 21, 1
	v_cmp_eq_u32_e64 s12, v22, v77
	v_add_nc_u32_e32 v74, -1, v76
	v_cndmask_b32_e64 v22, 0, v74, s12
	v_lshrrev_b32_e32 v74, 23, v75
	s_mov_b32 s12, exec_lo
	v_add_nc_u32_e32 v22, v22, v75
	v_xor_b32_e32 v74, 1, v74
	v_and_b32_e32 v21, 0x1fffff, v22
	v_add_nc_u32_e32 v22, v21, v75
                                        ; implicit-def: $vgpr21
	v_cmpx_ne_u32_e64 v83, v74
	s_xor_b32 s12, exec_lo, s12
; %bb.409:                              ;   in Loop: Header=BB2_110 Depth=3
	v_cmp_lt_u32_e32 vcc_lo, 0xffffff, v22
	v_sub_nc_u32_e32 v21, v83, v74
	v_cndmask_b32_e64 v83, 0, 1, vcc_lo
	v_add_co_ci_u32_e64 v21, null, 0, v21, vcc_lo
	v_lshrrev_b32_e32 v22, v83, v22
; %bb.410:                              ;   in Loop: Header=BB2_110 Depth=3
	s_andn2_saveexec_b32 s12, s12
	s_cbranch_execz .LBB2_107
; %bb.411:                              ;   in Loop: Header=BB2_110 Depth=3
	v_bfe_u32 v21, v22, 23, 1
	s_branch .LBB2_107
.LBB2_412:                              ;   in Loop: Header=BB2_110 Depth=3
	s_or_saveexec_b32 s26, s26
	v_mov_b32_e32 v17, 0x7f800001
	s_xor_b32 exec_lo, exec_lo, s26
	s_cbranch_execz .LBB2_131
.LBB2_413:                              ;   in Loop: Header=BB2_110 Depth=3
	v_cmp_ne_u16_sdwa s27, v19, v53 src0_sel:BYTE_0 src1_sel:DWORD
	v_mov_b32_e32 v17, 0
	s_andn2_b32 s25, s25, exec_lo
	s_and_b32 s27, s27, exec_lo
	s_or_b32 s25, s25, s27
	s_or_b32 exec_lo, exec_lo, s26
	s_and_saveexec_b32 s26, s25
	s_cbranch_execnz .LBB2_132
	s_branch .LBB2_133
.LBB2_414:                              ;   in Loop: Header=BB2_110 Depth=3
	s_or_saveexec_b32 s26, s26
	v_mov_b32_e32 v20, 0x7f800001
	s_xor_b32 exec_lo, exec_lo, s26
	s_cbranch_execz .LBB2_137
.LBB2_415:                              ;   in Loop: Header=BB2_110 Depth=3
	v_cmp_ne_u16_sdwa s27, v83, v53 src0_sel:BYTE_0 src1_sel:DWORD
	v_mov_b32_e32 v20, 0
	s_andn2_b32 s25, s25, exec_lo
	s_and_b32 s27, s27, exec_lo
	s_or_b32 s25, s25, s27
	s_or_b32 exec_lo, exec_lo, s26
	s_and_saveexec_b32 s26, s25
	s_cbranch_execnz .LBB2_138
	s_branch .LBB2_139
.LBB2_416:                              ;   in Loop: Header=BB2_110 Depth=3
	s_or_saveexec_b32 s26, s26
	v_mov_b32_e32 v17, 0x7f800001
	s_xor_b32 exec_lo, exec_lo, s26
	s_cbranch_execz .LBB2_145
.LBB2_417:                              ;   in Loop: Header=BB2_110 Depth=3
	v_cmp_ne_u16_sdwa s27, v19, v53 src0_sel:BYTE_0 src1_sel:DWORD
	v_mov_b32_e32 v17, 0
	s_andn2_b32 s25, s25, exec_lo
	s_and_b32 s27, s27, exec_lo
	s_or_b32 s25, s25, s27
	s_or_b32 exec_lo, exec_lo, s26
	s_and_saveexec_b32 s26, s25
	s_cbranch_execnz .LBB2_146
	s_branch .LBB2_147
.LBB2_418:                              ;   in Loop: Header=BB2_110 Depth=3
	s_or_saveexec_b32 s26, s26
	v_mov_b32_e32 v20, 0x7f800001
	s_xor_b32 exec_lo, exec_lo, s26
	s_cbranch_execz .LBB2_151
.LBB2_419:                              ;   in Loop: Header=BB2_110 Depth=3
	v_cmp_ne_u16_sdwa s27, v83, v53 src0_sel:BYTE_0 src1_sel:DWORD
	v_mov_b32_e32 v20, 0
	s_andn2_b32 s25, s25, exec_lo
	s_and_b32 s27, s27, exec_lo
	s_or_b32 s25, s25, s27
	s_or_b32 exec_lo, exec_lo, s26
	s_and_saveexec_b32 s26, s25
	s_cbranch_execnz .LBB2_152
	s_branch .LBB2_153
.LBB2_420:                              ;   in Loop: Header=BB2_110 Depth=3
	s_or_saveexec_b32 s26, s26
	v_mov_b32_e32 v20, 0x7f800001
	s_xor_b32 exec_lo, exec_lo, s26
	s_cbranch_execz .LBB2_167
.LBB2_421:                              ;   in Loop: Header=BB2_110 Depth=3
	v_cmp_ne_u16_sdwa s27, v19, v53 src0_sel:BYTE_1 src1_sel:DWORD
	v_mov_b32_e32 v20, 0
	s_andn2_b32 s25, s25, exec_lo
	s_and_b32 s27, s27, exec_lo
	s_or_b32 s25, s25, s27
	s_or_b32 exec_lo, exec_lo, s26
	s_and_saveexec_b32 s26, s25
	s_cbranch_execnz .LBB2_168
	s_branch .LBB2_169
.LBB2_422:                              ;   in Loop: Header=BB2_110 Depth=3
	s_or_saveexec_b32 s26, s26
	v_mov_b32_e32 v52, 0x7f800001
	s_xor_b32 exec_lo, exec_lo, s26
	s_cbranch_execz .LBB2_173
.LBB2_423:                              ;   in Loop: Header=BB2_110 Depth=3
	v_cmp_ne_u16_sdwa s27, v83, v53 src0_sel:BYTE_1 src1_sel:DWORD
	v_mov_b32_e32 v52, 0
	s_andn2_b32 s25, s25, exec_lo
	s_and_b32 s27, s27, exec_lo
	s_or_b32 s25, s25, s27
	s_or_b32 exec_lo, exec_lo, s26
	s_and_saveexec_b32 s26, s25
	s_cbranch_execnz .LBB2_174
	s_branch .LBB2_175
.LBB2_424:                              ;   in Loop: Header=BB2_110 Depth=3
	s_or_saveexec_b32 s26, s26
	v_mov_b32_e32 v20, 0x7f800001
	s_xor_b32 exec_lo, exec_lo, s26
	s_cbranch_execz .LBB2_181
.LBB2_425:                              ;   in Loop: Header=BB2_110 Depth=3
	v_cmp_ne_u16_sdwa s27, v19, v53 src0_sel:BYTE_1 src1_sel:DWORD
	v_mov_b32_e32 v20, 0
	s_andn2_b32 s25, s25, exec_lo
	s_and_b32 s27, s27, exec_lo
	s_or_b32 s25, s25, s27
	s_or_b32 exec_lo, exec_lo, s26
	s_and_saveexec_b32 s26, s25
	s_cbranch_execnz .LBB2_182
	s_branch .LBB2_183
.LBB2_426:                              ;   in Loop: Header=BB2_110 Depth=3
	s_or_saveexec_b32 s26, s26
	v_mov_b32_e32 v52, 0x7f800001
	s_xor_b32 exec_lo, exec_lo, s26
	s_cbranch_execz .LBB2_187
.LBB2_427:                              ;   in Loop: Header=BB2_110 Depth=3
	v_cmp_ne_u16_sdwa s27, v83, v53 src0_sel:BYTE_1 src1_sel:DWORD
	v_mov_b32_e32 v52, 0
	s_andn2_b32 s25, s25, exec_lo
	s_and_b32 s27, s27, exec_lo
	s_or_b32 s25, s25, s27
	s_or_b32 exec_lo, exec_lo, s26
	s_and_saveexec_b32 s26, s25
	s_cbranch_execnz .LBB2_188
	s_branch .LBB2_189
.LBB2_428:                              ;   in Loop: Header=BB2_110 Depth=3
	s_or_saveexec_b32 s26, s26
	v_mov_b32_e32 v52, 0x7f800001
	s_xor_b32 exec_lo, exec_lo, s26
	s_cbranch_execz .LBB2_203
.LBB2_429:                              ;   in Loop: Header=BB2_110 Depth=3
	v_cmp_ne_u16_e32 vcc_lo, 0, v96
	v_mov_b32_e32 v52, 0
	s_andn2_b32 s25, s25, exec_lo
	s_and_b32 s27, vcc_lo, exec_lo
	s_or_b32 s25, s25, s27
	s_or_b32 exec_lo, exec_lo, s26
	s_and_saveexec_b32 s26, s25
	s_cbranch_execnz .LBB2_204
	s_branch .LBB2_205
.LBB2_430:                              ;   in Loop: Header=BB2_110 Depth=3
	s_or_saveexec_b32 s26, s26
	v_mov_b32_e32 v96, 0x7f800001
	s_xor_b32 exec_lo, exec_lo, s26
	s_cbranch_execz .LBB2_209
.LBB2_431:                              ;   in Loop: Header=BB2_110 Depth=3
	v_cmp_ne_u16_e32 vcc_lo, 0, v97
	v_mov_b32_e32 v96, 0
	s_andn2_b32 s25, s25, exec_lo
	s_and_b32 s27, vcc_lo, exec_lo
	s_or_b32 s25, s25, s27
	s_or_b32 exec_lo, exec_lo, s26
	s_and_saveexec_b32 s26, s25
	s_cbranch_execnz .LBB2_210
	s_branch .LBB2_211
.LBB2_432:                              ;   in Loop: Header=BB2_110 Depth=3
	s_or_saveexec_b32 s26, s26
	v_mov_b32_e32 v52, 0x7f800001
	s_xor_b32 exec_lo, exec_lo, s26
	s_cbranch_execz .LBB2_217
.LBB2_433:                              ;   in Loop: Header=BB2_110 Depth=3
	v_cmp_ne_u16_e32 vcc_lo, 0, v96
	v_mov_b32_e32 v52, 0
	s_andn2_b32 s25, s25, exec_lo
	s_and_b32 s27, vcc_lo, exec_lo
	s_or_b32 s25, s25, s27
	s_or_b32 exec_lo, exec_lo, s26
	s_and_saveexec_b32 s26, s25
	s_cbranch_execnz .LBB2_218
	s_branch .LBB2_219
.LBB2_434:                              ;   in Loop: Header=BB2_110 Depth=3
	s_or_saveexec_b32 s26, s26
	v_mov_b32_e32 v96, 0x7f800001
	s_xor_b32 exec_lo, exec_lo, s26
	s_cbranch_execz .LBB2_223
.LBB2_435:                              ;   in Loop: Header=BB2_110 Depth=3
	v_cmp_ne_u16_e32 vcc_lo, 0, v97
	v_mov_b32_e32 v96, 0
	s_andn2_b32 s25, s25, exec_lo
	s_and_b32 s27, vcc_lo, exec_lo
	s_or_b32 s25, s25, s27
	s_or_b32 exec_lo, exec_lo, s26
	s_and_saveexec_b32 s26, s25
	s_cbranch_execnz .LBB2_224
	s_branch .LBB2_225
.LBB2_436:                              ;   in Loop: Header=BB2_110 Depth=3
	s_or_saveexec_b32 s26, s26
	v_mov_b32_e32 v96, 0x7f800001
	s_xor_b32 exec_lo, exec_lo, s26
	s_cbranch_execz .LBB2_239
.LBB2_437:                              ;   in Loop: Header=BB2_110 Depth=3
	v_cmp_ne_u16_sdwa s27, v19, v53 src0_sel:BYTE_3 src1_sel:DWORD
	v_mov_b32_e32 v96, 0
	s_andn2_b32 s25, s25, exec_lo
	s_and_b32 s27, s27, exec_lo
	s_or_b32 s25, s25, s27
	s_or_b32 exec_lo, exec_lo, s26
	s_and_saveexec_b32 s26, s25
	s_cbranch_execnz .LBB2_240
	s_branch .LBB2_241
.LBB2_438:                              ;   in Loop: Header=BB2_110 Depth=3
	s_or_saveexec_b32 s26, s26
	v_mov_b32_e32 v19, 0x7f800001
	s_xor_b32 exec_lo, exec_lo, s26
	s_cbranch_execz .LBB2_245
.LBB2_439:                              ;   in Loop: Header=BB2_110 Depth=3
	v_cmp_ne_u16_sdwa s27, v83, v53 src0_sel:BYTE_3 src1_sel:DWORD
	v_mov_b32_e32 v19, 0
	s_andn2_b32 s25, s25, exec_lo
	s_and_b32 s27, s27, exec_lo
	s_or_b32 s25, s25, s27
	s_or_b32 exec_lo, exec_lo, s26
	s_and_saveexec_b32 s26, s25
	s_cbranch_execnz .LBB2_246
	s_branch .LBB2_247
.LBB2_440:                              ;   in Loop: Header=BB2_110 Depth=3
	s_or_saveexec_b32 s26, s26
	v_mov_b32_e32 v96, 0x7f800001
	s_xor_b32 exec_lo, exec_lo, s26
	s_cbranch_execz .LBB2_253
.LBB2_441:                              ;   in Loop: Header=BB2_110 Depth=3
	v_cmp_ne_u16_sdwa s27, v19, v53 src0_sel:BYTE_3 src1_sel:DWORD
	v_mov_b32_e32 v96, 0
	s_andn2_b32 s25, s25, exec_lo
	s_and_b32 s27, s27, exec_lo
	s_or_b32 s25, s25, s27
	s_or_b32 exec_lo, exec_lo, s26
	s_and_saveexec_b32 s26, s25
	s_cbranch_execnz .LBB2_254
	s_branch .LBB2_255
.LBB2_442:                              ;   in Loop: Header=BB2_110 Depth=3
	s_or_saveexec_b32 s26, s26
	v_mov_b32_e32 v19, 0x7f800001
	s_xor_b32 exec_lo, exec_lo, s26
	s_cbranch_execz .LBB2_259
.LBB2_443:                              ;   in Loop: Header=BB2_110 Depth=3
	v_cmp_ne_u16_sdwa s27, v83, v53 src0_sel:BYTE_3 src1_sel:DWORD
	v_mov_b32_e32 v19, 0
	s_andn2_b32 s25, s25, exec_lo
	s_and_b32 s27, s27, exec_lo
	s_or_b32 s25, s25, s27
	s_or_b32 exec_lo, exec_lo, s26
	s_and_saveexec_b32 s26, s25
	s_cbranch_execnz .LBB2_260
	s_branch .LBB2_261
.LBB2_444:                              ;   in Loop: Header=BB2_110 Depth=3
	s_or_saveexec_b32 s26, s26
	v_mov_b32_e32 v22, 0x7f800001
	s_xor_b32 exec_lo, exec_lo, s26
	s_cbranch_execz .LBB2_275
.LBB2_445:                              ;   in Loop: Header=BB2_110 Depth=3
	v_cmp_ne_u16_sdwa s27, v21, v53 src0_sel:BYTE_0 src1_sel:DWORD
	v_mov_b32_e32 v22, 0
	s_andn2_b32 s25, s25, exec_lo
	s_and_b32 s27, s27, exec_lo
	s_or_b32 s25, s25, s27
	s_or_b32 exec_lo, exec_lo, s26
	s_and_saveexec_b32 s26, s25
	s_cbranch_execnz .LBB2_276
	s_branch .LBB2_277
.LBB2_446:                              ;   in Loop: Header=BB2_110 Depth=3
	s_or_saveexec_b32 s26, s26
	v_mov_b32_e32 v96, 0x7f800001
	s_xor_b32 exec_lo, exec_lo, s26
	s_cbranch_execz .LBB2_281
.LBB2_447:                              ;   in Loop: Header=BB2_110 Depth=3
	v_cmp_ne_u16_sdwa s27, v83, v53 src0_sel:BYTE_0 src1_sel:DWORD
	v_mov_b32_e32 v96, 0
	s_andn2_b32 s25, s25, exec_lo
	s_and_b32 s27, s27, exec_lo
	s_or_b32 s25, s25, s27
	s_or_b32 exec_lo, exec_lo, s26
	s_and_saveexec_b32 s26, s25
	s_cbranch_execnz .LBB2_282
	s_branch .LBB2_283
.LBB2_448:                              ;   in Loop: Header=BB2_110 Depth=3
	s_or_saveexec_b32 s26, s26
	v_mov_b32_e32 v22, 0x7f800001
	s_xor_b32 exec_lo, exec_lo, s26
	s_cbranch_execz .LBB2_289
.LBB2_449:                              ;   in Loop: Header=BB2_110 Depth=3
	v_cmp_ne_u16_sdwa s27, v21, v53 src0_sel:BYTE_0 src1_sel:DWORD
	v_mov_b32_e32 v22, 0
	s_andn2_b32 s25, s25, exec_lo
	s_and_b32 s27, s27, exec_lo
	s_or_b32 s25, s25, s27
	s_or_b32 exec_lo, exec_lo, s26
	s_and_saveexec_b32 s26, s25
	s_cbranch_execnz .LBB2_290
	s_branch .LBB2_291
.LBB2_450:                              ;   in Loop: Header=BB2_110 Depth=3
	s_or_saveexec_b32 s26, s26
	v_mov_b32_e32 v96, 0x7f800001
	s_xor_b32 exec_lo, exec_lo, s26
	s_cbranch_execz .LBB2_295
.LBB2_451:                              ;   in Loop: Header=BB2_110 Depth=3
	v_cmp_ne_u16_sdwa s27, v83, v53 src0_sel:BYTE_0 src1_sel:DWORD
	v_mov_b32_e32 v96, 0
	s_andn2_b32 s25, s25, exec_lo
	s_and_b32 s27, s27, exec_lo
	s_or_b32 s25, s25, s27
	s_or_b32 exec_lo, exec_lo, s26
	s_and_saveexec_b32 s26, s25
	s_cbranch_execnz .LBB2_296
	s_branch .LBB2_297
.LBB2_452:                              ;   in Loop: Header=BB2_110 Depth=3
	s_or_saveexec_b32 s26, s26
	v_mov_b32_e32 v22, 0x7f800001
	s_xor_b32 exec_lo, exec_lo, s26
	s_cbranch_execz .LBB2_311
.LBB2_453:                              ;   in Loop: Header=BB2_110 Depth=3
	v_cmp_ne_u16_sdwa s27, v21, v53 src0_sel:BYTE_1 src1_sel:DWORD
	v_mov_b32_e32 v22, 0
	s_andn2_b32 s25, s25, exec_lo
	s_and_b32 s27, s27, exec_lo
	s_or_b32 s25, s25, s27
	s_or_b32 exec_lo, exec_lo, s26
	s_and_saveexec_b32 s26, s25
	s_cbranch_execnz .LBB2_312
	s_branch .LBB2_313
.LBB2_454:                              ;   in Loop: Header=BB2_110 Depth=3
	s_or_saveexec_b32 s26, s26
	v_mov_b32_e32 v97, 0x7f800001
	s_xor_b32 exec_lo, exec_lo, s26
	s_cbranch_execz .LBB2_317
.LBB2_455:                              ;   in Loop: Header=BB2_110 Depth=3
	v_cmp_ne_u16_sdwa s27, v83, v53 src0_sel:BYTE_1 src1_sel:DWORD
	v_mov_b32_e32 v97, 0
	s_andn2_b32 s25, s25, exec_lo
	s_and_b32 s27, s27, exec_lo
	s_or_b32 s25, s25, s27
	s_or_b32 exec_lo, exec_lo, s26
	s_and_saveexec_b32 s26, s25
	s_cbranch_execnz .LBB2_318
	s_branch .LBB2_319
.LBB2_456:                              ;   in Loop: Header=BB2_110 Depth=3
	s_or_saveexec_b32 s26, s26
	v_mov_b32_e32 v22, 0x7f800001
	s_xor_b32 exec_lo, exec_lo, s26
	s_cbranch_execz .LBB2_325
.LBB2_457:                              ;   in Loop: Header=BB2_110 Depth=3
	v_cmp_ne_u16_sdwa s27, v21, v53 src0_sel:BYTE_1 src1_sel:DWORD
	v_mov_b32_e32 v22, 0
	s_andn2_b32 s25, s25, exec_lo
	s_and_b32 s27, s27, exec_lo
	s_or_b32 s25, s25, s27
	s_or_b32 exec_lo, exec_lo, s26
	s_and_saveexec_b32 s26, s25
	s_cbranch_execnz .LBB2_326
	s_branch .LBB2_327
.LBB2_458:                              ;   in Loop: Header=BB2_110 Depth=3
	s_or_saveexec_b32 s26, s26
	v_mov_b32_e32 v97, 0x7f800001
	s_xor_b32 exec_lo, exec_lo, s26
	s_cbranch_execz .LBB2_331
.LBB2_459:                              ;   in Loop: Header=BB2_110 Depth=3
	v_cmp_ne_u16_sdwa s27, v83, v53 src0_sel:BYTE_1 src1_sel:DWORD
	v_mov_b32_e32 v97, 0
	s_andn2_b32 s25, s25, exec_lo
	s_and_b32 s27, s27, exec_lo
	s_or_b32 s25, s25, s27
	s_or_b32 exec_lo, exec_lo, s26
	s_and_saveexec_b32 s26, s25
	s_cbranch_execnz .LBB2_332
	s_branch .LBB2_333
.LBB2_460:                              ;   in Loop: Header=BB2_110 Depth=3
	s_or_saveexec_b32 s26, s26
	v_mov_b32_e32 v22, 0x7f800001
	s_xor_b32 exec_lo, exec_lo, s26
	s_cbranch_execz .LBB2_347
.LBB2_461:                              ;   in Loop: Header=BB2_110 Depth=3
	v_cmp_ne_u16_e32 vcc_lo, 0, v72
	v_mov_b32_e32 v22, 0
	s_andn2_b32 s25, s25, exec_lo
	s_and_b32 s27, vcc_lo, exec_lo
	s_or_b32 s25, s25, s27
	s_or_b32 exec_lo, exec_lo, s26
	s_and_saveexec_b32 s26, s25
	s_cbranch_execnz .LBB2_348
	s_branch .LBB2_349
.LBB2_462:                              ;   in Loop: Header=BB2_110 Depth=3
	s_or_saveexec_b32 s26, s26
	v_mov_b32_e32 v72, 0x7f800001
	s_xor_b32 exec_lo, exec_lo, s26
	s_cbranch_execz .LBB2_353
.LBB2_463:                              ;   in Loop: Header=BB2_110 Depth=3
	v_cmp_ne_u16_e32 vcc_lo, 0, v73
	v_mov_b32_e32 v72, 0
	s_andn2_b32 s25, s25, exec_lo
	s_and_b32 s27, vcc_lo, exec_lo
	s_or_b32 s25, s25, s27
	s_or_b32 exec_lo, exec_lo, s26
	s_and_saveexec_b32 s26, s25
	s_cbranch_execnz .LBB2_354
	s_branch .LBB2_355
.LBB2_464:                              ;   in Loop: Header=BB2_110 Depth=3
	s_or_saveexec_b32 s26, s26
	v_mov_b32_e32 v22, 0x7f800001
	s_xor_b32 exec_lo, exec_lo, s26
	s_cbranch_execz .LBB2_361
.LBB2_465:                              ;   in Loop: Header=BB2_110 Depth=3
	v_cmp_ne_u16_e32 vcc_lo, 0, v72
	v_mov_b32_e32 v22, 0
	s_andn2_b32 s25, s25, exec_lo
	s_and_b32 s27, vcc_lo, exec_lo
	s_or_b32 s25, s25, s27
	s_or_b32 exec_lo, exec_lo, s26
	s_and_saveexec_b32 s26, s25
	s_cbranch_execnz .LBB2_362
	s_branch .LBB2_363
.LBB2_466:                              ;   in Loop: Header=BB2_110 Depth=3
	s_or_saveexec_b32 s26, s26
	v_mov_b32_e32 v72, 0x7f800001
	s_xor_b32 exec_lo, exec_lo, s26
	s_cbranch_execz .LBB2_367
.LBB2_467:                              ;   in Loop: Header=BB2_110 Depth=3
	v_cmp_ne_u16_e32 vcc_lo, 0, v73
	v_mov_b32_e32 v72, 0
	s_andn2_b32 s25, s25, exec_lo
	s_and_b32 s27, vcc_lo, exec_lo
	s_or_b32 s25, s25, s27
	s_or_b32 exec_lo, exec_lo, s26
	s_and_saveexec_b32 s26, s25
	s_cbranch_execnz .LBB2_368
	s_branch .LBB2_369
.LBB2_468:                              ;   in Loop: Header=BB2_110 Depth=3
	s_or_saveexec_b32 s26, s26
	v_mov_b32_e32 v22, 0x7f800001
	s_xor_b32 exec_lo, exec_lo, s26
	s_cbranch_execz .LBB2_383
.LBB2_469:                              ;   in Loop: Header=BB2_110 Depth=3
	v_cmp_ne_u16_sdwa s27, v21, v53 src0_sel:BYTE_3 src1_sel:DWORD
	v_mov_b32_e32 v22, 0
	s_andn2_b32 s25, s25, exec_lo
	s_and_b32 s27, s27, exec_lo
	s_or_b32 s25, s25, s27
	s_or_b32 exec_lo, exec_lo, s26
	s_and_saveexec_b32 s26, s25
	s_cbranch_execnz .LBB2_384
	s_branch .LBB2_385
.LBB2_470:                              ;   in Loop: Header=BB2_110 Depth=3
	s_or_saveexec_b32 s26, s26
	v_mov_b32_e32 v21, 0x7f800001
	s_xor_b32 exec_lo, exec_lo, s26
	s_cbranch_execz .LBB2_389
.LBB2_471:                              ;   in Loop: Header=BB2_110 Depth=3
	v_cmp_ne_u16_sdwa s27, v83, v53 src0_sel:BYTE_3 src1_sel:DWORD
	v_mov_b32_e32 v21, 0
	s_andn2_b32 s25, s25, exec_lo
	s_and_b32 s27, s27, exec_lo
	s_or_b32 s25, s25, s27
	s_or_b32 exec_lo, exec_lo, s26
	s_and_saveexec_b32 s26, s25
	s_cbranch_execnz .LBB2_390
	s_branch .LBB2_391
.LBB2_472:                              ;   in Loop: Header=BB2_110 Depth=3
	s_or_saveexec_b32 s26, s26
	v_mov_b32_e32 v22, 0x7f800001
	s_xor_b32 exec_lo, exec_lo, s26
	s_cbranch_execz .LBB2_397
.LBB2_473:                              ;   in Loop: Header=BB2_110 Depth=3
	v_cmp_ne_u16_sdwa s27, v21, v53 src0_sel:BYTE_3 src1_sel:DWORD
	v_mov_b32_e32 v22, 0
	s_andn2_b32 s25, s25, exec_lo
	s_and_b32 s27, s27, exec_lo
	s_or_b32 s25, s25, s27
	s_or_b32 exec_lo, exec_lo, s26
	s_and_saveexec_b32 s26, s25
	s_cbranch_execnz .LBB2_398
	s_branch .LBB2_399
.LBB2_474:                              ;   in Loop: Header=BB2_110 Depth=3
	s_or_saveexec_b32 s26, s26
	v_mov_b32_e32 v21, 0x7f800001
	s_xor_b32 exec_lo, exec_lo, s26
	s_cbranch_execz .LBB2_403
.LBB2_475:                              ;   in Loop: Header=BB2_110 Depth=3
	v_cmp_ne_u16_sdwa s27, v83, v53 src0_sel:BYTE_3 src1_sel:DWORD
	v_mov_b32_e32 v21, 0
	s_andn2_b32 s25, s25, exec_lo
	s_and_b32 s27, s27, exec_lo
	s_or_b32 s25, s25, s27
	s_or_b32 exec_lo, exec_lo, s26
	s_and_saveexec_b32 s26, s25
	s_cbranch_execnz .LBB2_404
	s_branch .LBB2_405
.LBB2_476:                              ;   in Loop: Header=BB2_70 Depth=2
	s_or_b32 exec_lo, exec_lo, s23
	s_and_saveexec_b32 s12, s7
	s_cbranch_execz .LBB2_489
.LBB2_477:                              ;   in Loop: Header=BB2_70 Depth=2
	s_and_saveexec_b32 s23, s19
	s_xor_b32 s23, exec_lo, s23
	s_cbranch_execz .LBB2_498
; %bb.478:                              ;   in Loop: Header=BB2_70 Depth=2
	s_and_saveexec_b32 s24, s8
	s_cbranch_execz .LBB2_497
; %bb.479:                              ;   in Loop: Header=BB2_70 Depth=2
	s_mov_b32 s26, exec_lo
	s_mov_b32 s25, exec_lo
	v_mbcnt_lo_u32_b32 v17, s26, 0
	s_waitcnt vmcnt(0) lgkmcnt(0)
	s_waitcnt_vscnt null, 0x0
	buffer_gl1_inv
	buffer_gl0_inv
	v_cmpx_eq_u32_e32 0, v17
	s_cbranch_execz .LBB2_481
; %bb.480:                              ;   in Loop: Header=BB2_70 Depth=2
	s_bcnt1_i32_b32 s26, s26
	v_mov_b32_e32 v52, s26
	ds_add_u64 v0, v[52:53]
	s_trap 2
.LBB2_481:                              ;   in Loop: Header=BB2_70 Depth=2
	s_or_b32 exec_lo, exec_lo, s25
	s_trap 2
	ds_read_b64 v[19:20], v0
	s_waitcnt lgkmcnt(0)
	buffer_gl0_inv
	v_add_co_u32 v2, vcc_lo, v2, v100
	v_add_co_ci_u32_e64 v3, null, 0, v3, vcc_lo
	s_mov_b32 s25, exec_lo
	v_cmpx_lt_u64_e64 v[19:20], v[2:3]
	s_cbranch_execz .LBB2_496
; %bb.482:                              ;   in Loop: Header=BB2_70 Depth=2
	s_mov_b32 s26, 0
	s_mov_b32 s29, 0
                                        ; implicit-def: $sgpr27
                                        ; implicit-def: $sgpr28
	s_inst_prefetch 0x1
	s_branch .LBB2_484
	.p2align	6
.LBB2_483:                              ;   in Loop: Header=BB2_484 Depth=3
	s_or_b32 exec_lo, exec_lo, s41
	s_and_b32 s40, exec_lo, s42
	s_or_b32 s26, s40, s26
	s_andn2_b32 s27, s27, exec_lo
	s_and_b32 s40, s28, exec_lo
	s_or_b32 s27, s27, s40
	s_andn2_b32 exec_lo, exec_lo, s26
	s_cbranch_execz .LBB2_494
.LBB2_484:                              ;   Parent Loop BB2_21 Depth=1
                                        ;     Parent Loop BB2_70 Depth=2
                                        ; =>    This Inner Loop Header: Depth=3
	s_add_i32 s29, s29, 1
	s_cmpk_lg_i32 s29, 0x2710
	s_cselect_b32 s40, -1, 0
	s_and_b32 vcc_lo, exec_lo, s40
	s_cbranch_vccz .LBB2_486
; %bb.485:                              ;   in Loop: Header=BB2_484 Depth=3
	s_mov_b32 s42, -1
	s_or_b32 s28, s28, exec_lo
	s_and_saveexec_b32 s41, s40
	s_cbranch_execz .LBB2_483
	s_branch .LBB2_487
	.p2align	6
.LBB2_486:                              ;   in Loop: Header=BB2_484 Depth=3
	s_trap 2
	ds_read_b64 v[19:20], v0
	s_andn2_b32 s40, s40, exec_lo
	s_mov_b32 s29, 0
	s_waitcnt lgkmcnt(0)
	flat_load_dword v17, v[19:20] glc dlc
	s_waitcnt vmcnt(0) lgkmcnt(0)
	buffer_gl1_inv
	buffer_gl0_inv
	v_cmp_eq_u32_e32 vcc_lo, 0, v17
	s_and_b32 s41, vcc_lo, exec_lo
	s_or_b32 s40, s40, s41
	s_mov_b32 s42, -1
	s_or_b32 s28, s28, exec_lo
	s_and_saveexec_b32 s41, s40
	s_cbranch_execz .LBB2_483
.LBB2_487:                              ;   in Loop: Header=BB2_484 Depth=3
	s_sleep 1
	s_trap 2
	ds_read_b64 v[19:20], v0
	s_waitcnt lgkmcnt(0)
	buffer_gl0_inv
	s_andn2_b32 s28, s28, exec_lo
	v_cmp_ge_u64_e32 vcc_lo, v[19:20], v[2:3]
	s_orn2_b32 s42, vcc_lo, exec_lo
	s_branch .LBB2_483
.LBB2_488:                              ;   in Loop: Header=BB2_70 Depth=2
	s_or_b32 exec_lo, exec_lo, s24
	s_or_b32 exec_lo, exec_lo, s23
	s_and_saveexec_b32 s12, s7
	s_cbranch_execnz .LBB2_477
.LBB2_489:                              ;   in Loop: Header=BB2_70 Depth=2
	s_or_b32 exec_lo, exec_lo, s12
	s_and_saveexec_b32 s12, s10
	s_cbranch_execz .LBB2_491
.LBB2_490:                              ;   in Loop: Header=BB2_70 Depth=2
	v_add_co_u32 v38, vcc_lo, v38, 1
	v_add_co_ci_u32_e64 v39, null, 0, v39, vcc_lo
	s_waitcnt vmcnt(0) lgkmcnt(0)
	s_waitcnt_vscnt null, 0x0
	flat_store_dwordx2 v[48:49], v[38:39]
.LBB2_491:                              ;   in Loop: Header=BB2_70 Depth=2
	s_or_b32 exec_lo, exec_lo, s12
	v_and_b32_e32 v52, 0x7ffffff8, v70
	v_cmp_gt_i32_e64 s12, s18, v82
	v_cmp_eq_u64_e32 vcc_lo, 0x7ffffff8, v[52:53]
	s_and_b32 s12, vcc_lo, s12
	s_and_saveexec_b32 s23, s12
	s_cbranch_execz .LBB2_69
; %bb.492:                              ;   in Loop: Header=BB2_70 Depth=2
	v_and_b32_e32 v17, 7, v57
	v_ashrrev_i32_e32 v83, 31, v82
	s_mov_b32 s24, 0
	s_waitcnt vmcnt(0) lgkmcnt(0)
	v_mul_lo_u32 v19, s18, v17
	v_lshlrev_b64 v[21:22], 4, v[82:83]
	v_mov_b32_e32 v17, v53
	v_ashrrev_i32_e32 v20, 31, v19
	v_lshlrev_b64 v[19:20], 4, v[19:20]
	v_add_co_u32 v19, vcc_lo, v21, v19
	v_add_co_ci_u32_e64 v20, null, v22, v20, vcc_lo
	v_add_co_u32 v21, vcc_lo, v36, v19
	v_add_co_ci_u32_e64 v22, null, v37, v20, vcc_lo
.LBB2_493:                              ;   Parent Loop BB2_21 Depth=1
                                        ;     Parent Loop BB2_70 Depth=2
                                        ; =>    This Inner Loop Header: Depth=3
	v_mov_b32_e32 v19, v17
	v_add_nc_u32_e32 v82, v82, v1
	v_mov_b32_e32 v20, v18
	v_cmp_le_i32_e32 vcc_lo, s18, v82
	global_store_dwordx4 v[21:22], v[17:20], off
	v_add_co_u32 v21, s12, v21, v9
	v_add_co_ci_u32_e64 v22, null, v22, v10, s12
	s_or_b32 s24, vcc_lo, s24
	s_andn2_b32 exec_lo, exec_lo, s24
	s_cbranch_execnz .LBB2_493
	s_branch .LBB2_69
.LBB2_494:                              ;   in Loop: Header=BB2_70 Depth=2
	s_inst_prefetch 0x2
	s_or_b32 exec_lo, exec_lo, s26
	s_and_saveexec_b32 s26, s27
	s_xor_b32 s26, exec_lo, s26
	s_cbranch_execz .LBB2_496
; %bb.495:                              ;   in Loop: Header=BB2_70 Depth=2
	ds_write_b32 v0, v118
	s_trap 2
.LBB2_496:                              ;   in Loop: Header=BB2_70 Depth=2
	s_or_b32 exec_lo, exec_lo, s25
	;;#ASMSTART
	s_wakeup
	;;#ASMEND
.LBB2_497:                              ;   in Loop: Header=BB2_70 Depth=2
	s_or_b32 exec_lo, exec_lo, s24
.LBB2_498:                              ;   in Loop: Header=BB2_70 Depth=2
	s_andn2_saveexec_b32 s23, s23
	s_cbranch_execz .LBB2_500
; %bb.499:                              ;   in Loop: Header=BB2_70 Depth=2
	s_waitcnt vmcnt(0) lgkmcnt(0)
	s_waitcnt_vscnt null, 0x0
	buffer_gl1_inv
	buffer_gl0_inv
	s_barrier
.LBB2_500:                              ;   in Loop: Header=BB2_70 Depth=2
	s_or_b32 exec_lo, exec_lo, s23
	s_or_b32 exec_lo, exec_lo, s12
	s_and_saveexec_b32 s12, s10
	s_cbranch_execnz .LBB2_490
	s_branch .LBB2_491
.LBB2_501:                              ;   in Loop: Header=BB2_21 Depth=1
	v_mov_b32_e32 v21, v70
	v_mov_b32_e32 v22, v71
	s_and_saveexec_b32 s12, s11
	s_cbranch_execz .LBB2_890
; %bb.502:                              ;   in Loop: Header=BB2_21 Depth=1
	flat_load_dword v52, v[23:24]
	v_and_b32_e32 v17, 7, v34
	s_waitcnt vmcnt(1) lgkmcnt(1)
	v_add_co_u32 v19, vcc_lo, v11, v47
	v_add_co_ci_u32_e64 v20, null, v12, v56, vcc_lo
	v_mul_lo_u32 v17, v17, s18
	v_add_nc_u32_e32 v83, 1, v34
	s_mov_b32 s22, 0
	v_ashrrev_i32_e32 v18, 31, v17
	v_lshlrev_b64 v[17:18], 4, v[17:18]
	s_waitcnt vmcnt(0) lgkmcnt(0)
	v_ashrrev_i32_e32 v70, 31, v52
	v_mul_lo_u32 v80, v99, v52
	v_mad_u64_u32 v[19:20], null, v98, v52, v[19:20]
	v_mul_lo_u32 v52, v98, v70
	v_add_co_u32 v70, vcc_lo, v113, v47
	v_add_co_ci_u32_e64 v71, null, v114, v56, vcc_lo
	v_add_co_u32 v84, vcc_lo, v32, v17
	v_add_co_ci_u32_e64 v85, null, v33, v18, vcc_lo
	v_add3_u32 v20, v80, v20, v52
	v_add_co_u32 v86, vcc_lo, v19, v101
	v_mov_b32_e32 v80, v4
	v_add_co_ci_u32_e64 v87, null, 0, v20, vcc_lo
	s_branch .LBB2_504
.LBB2_503:                              ;   in Loop: Header=BB2_504 Depth=2
	v_sub_nc_u32_e32 v45, v45, v102
	v_add_co_u32 v86, vcc_lo, v86, v102
	v_add_co_ci_u32_e64 v87, null, 0, v87, vcc_lo
	v_cmp_gt_i32_e32 vcc_lo, 1, v45
	v_add_co_u32 v70, s11, v70, v102
	v_add_co_ci_u32_e64 v71, null, 0, v71, s11
	v_add_nc_u32_e32 v80, v80, v1
	s_or_b32 s22, vcc_lo, s22
	s_andn2_b32 exec_lo, exec_lo, s22
	s_cbranch_execz .LBB2_902
.LBB2_504:                              ;   Parent Loop BB2_21 Depth=1
                                        ; =>  This Loop Header: Depth=2
                                        ;       Child Loop BB2_512 Depth 3
	v_and_b32_e32 v17, -4, v86
	v_mov_b32_e32 v18, v87
	v_min_u32_e32 v19, 8, v45
	v_and_b32_e32 v20, 3, v86
	v_mov_b32_e32 v96, 0
	v_mov_b32_e32 v97, 0
	global_load_dword v46, v[17:18], off slc
	s_mov_b32 s11, exec_lo
	v_add_nc_u32_e32 v52, v20, v19
	v_cmpx_lt_u32_e32 4, v52
	s_cbranch_execz .LBB2_506
; %bb.505:                              ;   in Loop: Header=BB2_504 Depth=2
	global_load_dword v97, v[17:18], off offset:4 slc
.LBB2_506:                              ;   in Loop: Header=BB2_504 Depth=2
	s_or_b32 exec_lo, exec_lo, s11
	s_mov_b32 s11, exec_lo
	v_cmpx_lt_u64_e32 8, v[52:53]
	s_cbranch_execz .LBB2_508
; %bb.507:                              ;   in Loop: Header=BB2_504 Depth=2
	global_load_dword v96, v[17:18], off offset:8 slc
.LBB2_508:                              ;   in Loop: Header=BB2_504 Depth=2
	s_or_b32 exec_lo, exec_lo, s11
	v_mov_b32_e32 v81, v53
	v_lshlrev_b64 v[17:18], 4, v[80:81]
	v_add_co_u32 v81, vcc_lo, v84, v17
	v_add_co_ci_u32_e64 v82, null, v85, v18, vcc_lo
	v_cmp_eq_u32_e32 vcc_lo, 0, v44
	v_mov_b32_e32 v44, 1
	global_load_dwordx4 v[17:20], v[81:82], off slc
	s_and_saveexec_b32 s23, vcc_lo
	s_cbranch_execz .LBB2_520
; %bb.509:                              ;   in Loop: Header=BB2_504 Depth=2
	s_waitcnt vmcnt(0)
	v_cmp_ne_u32_e32 vcc_lo, v83, v18
	v_cmp_ne_u32_e64 s11, v83, v20
	v_mov_b32_e32 v44, 0
	s_or_b32 s11, vcc_lo, s11
	s_and_saveexec_b32 s24, s11
	s_cbranch_execz .LBB2_519
; %bb.510:                              ;   in Loop: Header=BB2_504 Depth=2
	s_mov_b32 s28, 1
	s_mov_b32 s26, 0
                                        ; implicit-def: $sgpr25
                                        ; implicit-def: $sgpr27
	s_inst_prefetch 0x1
	s_branch .LBB2_512
	.p2align	6
.LBB2_511:                              ;   in Loop: Header=BB2_512 Depth=3
	s_or_b32 exec_lo, exec_lo, s40
	s_and_b32 s11, exec_lo, s11
	s_or_b32 s26, s11, s26
	s_andn2_b32 s11, s25, exec_lo
	s_and_b32 s25, s27, exec_lo
	s_or_b32 s25, s11, s25
	s_andn2_b32 exec_lo, exec_lo, s26
	s_cbranch_execz .LBB2_516
.LBB2_512:                              ;   Parent Loop BB2_21 Depth=1
                                        ;     Parent Loop BB2_504 Depth=2
                                        ; =>    This Inner Loop Header: Depth=3
	global_load_dwordx4 v[17:20], v[81:82], off slc
	s_add_i32 s28, s28, 1
	s_mov_b32 s11, -1
	s_cmpk_lg_i32 s28, 0x2710
	s_mov_b32 s29, -1
                                        ; implicit-def: $vgpr52
	s_cbranch_scc0 .LBB2_514
; %bb.513:                              ;   in Loop: Header=BB2_512 Depth=3
	s_or_b32 s27, s27, exec_lo
	s_and_saveexec_b32 s40, s29
	s_cbranch_execz .LBB2_511
	s_branch .LBB2_515
	.p2align	6
.LBB2_514:                              ;   in Loop: Header=BB2_512 Depth=3
	s_trap 2
	ds_read_b64 v[56:57], v0
	s_mov_b32 s28, 0
	s_waitcnt vmcnt(0) lgkmcnt(0)
	s_waitcnt_vscnt null, 0x0
	flat_load_dword v52, v[56:57] glc dlc
	s_waitcnt vmcnt(0) lgkmcnt(0)
	buffer_gl1_inv
	buffer_gl0_inv
	v_cmp_eq_u32_e32 vcc_lo, 0, v52
	s_orn2_b32 s29, vcc_lo, exec_lo
	s_or_b32 s27, s27, exec_lo
	s_and_saveexec_b32 s40, s29
	s_cbranch_execz .LBB2_511
.LBB2_515:                              ;   in Loop: Header=BB2_512 Depth=3
	s_waitcnt vmcnt(0)
	v_cmp_eq_u32_e32 vcc_lo, v83, v18
	v_cmp_eq_u32_e64 s11, v83, v20
	s_andn2_b32 s27, s27, exec_lo
	s_and_b32 s11, vcc_lo, s11
	s_orn2_b32 s11, s11, exec_lo
	s_branch .LBB2_511
.LBB2_516:                              ;   in Loop: Header=BB2_504 Depth=2
	s_inst_prefetch 0x2
	s_or_b32 exec_lo, exec_lo, s26
	v_mov_b32_e32 v44, 0
	s_and_saveexec_b32 s11, s25
	s_xor_b32 s11, exec_lo, s11
	s_cbranch_execz .LBB2_518
; %bb.517:                              ;   in Loop: Header=BB2_504 Depth=2
	v_mov_b32_e32 v44, 1
	s_waitcnt vmcnt(0)
	s_waitcnt_vscnt null, 0x0
	ds_write_b32 v0, v52
	s_trap 2
.LBB2_518:                              ;   in Loop: Header=BB2_504 Depth=2
	s_or_b32 exec_lo, exec_lo, s11
.LBB2_519:                              ;   in Loop: Header=BB2_504 Depth=2
	s_or_b32 exec_lo, exec_lo, s24
.LBB2_520:                              ;   in Loop: Header=BB2_504 Depth=2
	s_or_b32 exec_lo, exec_lo, s23
	s_waitcnt vmcnt(0)
	v_lshlrev_b32_e32 v20, 3, v86
                                        ; implicit-def: $vgpr52
	v_alignbit_b32 v82, v97, v46, v20
	s_and_saveexec_b32 s11, s9
	s_xor_b32 s11, exec_lo, s11
	s_cbranch_execz .LBB2_534
; %bb.521:                              ;   in Loop: Header=BB2_504 Depth=2
	v_cmp_gt_i16_sdwa s24, v17, v119 src0_sel:BYTE_0 src1_sel:DWORD
	s_mov_b32 s23, 0
	s_and_saveexec_b32 s25, s24
	s_xor_b32 s24, exec_lo, s25
	s_cbranch_execz .LBB2_826
; %bb.522:                              ;   in Loop: Header=BB2_504 Depth=2
	v_cmp_eq_u16_sdwa s26, v17, v40 src0_sel:BYTE_0 src1_sel:DWORD
	s_mov_b32 s23, -1
	s_and_saveexec_b32 s25, s26
; %bb.523:                              ;   in Loop: Header=BB2_504 Depth=2
	s_xor_b32 s23, exec_lo, -1
; %bb.524:                              ;   in Loop: Header=BB2_504 Depth=2
	s_or_b32 exec_lo, exec_lo, s25
	s_and_b32 s23, s23, exec_lo
	s_or_saveexec_b32 s24, s24
	v_mov_b32_e32 v18, 0x7f800001
	s_xor_b32 exec_lo, exec_lo, s24
	s_cbranch_execnz .LBB2_827
.LBB2_525:                              ;   in Loop: Header=BB2_504 Depth=2
	s_or_b32 exec_lo, exec_lo, s24
	s_and_saveexec_b32 s24, s23
	s_cbranch_execz .LBB2_527
.LBB2_526:                              ;   in Loop: Header=BB2_504 Depth=2
	v_and_b32_e32 v18, 3, v17
	v_bfe_u32 v46, v17, 2, 5
	v_lshlrev_b32_e32 v47, 24, v17
	v_ffbh_u32_e32 v52, v18
	v_cmp_eq_u32_e32 vcc_lo, 0, v46
	v_min_u32_e32 v52, 32, v52
	v_subrev_nc_u32_e32 v81, 29, v52
	v_sub_nc_u32_e32 v52, 30, v52
	v_lshlrev_b32_e32 v81, v81, v17
	v_cndmask_b32_e32 v52, v46, v52, vcc_lo
	v_and_b32_e32 v81, 3, v81
	v_lshl_add_u32 v52, v52, 23, 0x37800000
	v_cndmask_b32_e32 v18, v18, v81, vcc_lo
	v_and_b32_e32 v81, 0x80000000, v47
	v_lshlrev_b32_e32 v18, 21, v18
	v_or3_b32 v18, v81, v52, v18
.LBB2_527:                              ;   in Loop: Header=BB2_504 Depth=2
	s_or_b32 exec_lo, exec_lo, s24
	v_cmp_gt_i16_sdwa s24, v82, v119 src0_sel:BYTE_0 src1_sel:DWORD
	s_mov_b32 s23, 0
	s_and_saveexec_b32 s25, s24
	s_xor_b32 s24, exec_lo, s25
	s_cbranch_execz .LBB2_828
; %bb.528:                              ;   in Loop: Header=BB2_504 Depth=2
	v_cmp_eq_u16_sdwa s26, v82, v40 src0_sel:BYTE_0 src1_sel:DWORD
	s_mov_b32 s23, -1
	s_and_saveexec_b32 s25, s26
; %bb.529:                              ;   in Loop: Header=BB2_504 Depth=2
	s_xor_b32 s23, exec_lo, -1
; %bb.530:                              ;   in Loop: Header=BB2_504 Depth=2
	s_or_b32 exec_lo, exec_lo, s25
	s_and_b32 s23, s23, exec_lo
	s_or_saveexec_b32 s24, s24
	v_mov_b32_e32 v52, 0x7f800001
	s_xor_b32 exec_lo, exec_lo, s24
	s_cbranch_execnz .LBB2_829
.LBB2_531:                              ;   in Loop: Header=BB2_504 Depth=2
	s_or_b32 exec_lo, exec_lo, s24
	s_and_saveexec_b32 s24, s23
	s_cbranch_execz .LBB2_533
.LBB2_532:                              ;   in Loop: Header=BB2_504 Depth=2
	v_and_b32_e32 v52, 3, v82
	v_bfe_u32 v47, v82, 2, 5
	v_lshlrev_b32_e32 v56, 24, v82
	v_ffbh_u32_e32 v81, v52
	v_cmp_eq_u32_e32 vcc_lo, 0, v47
	v_min_u32_e32 v81, 32, v81
	v_subrev_nc_u32_e32 v46, 29, v81
	v_sub_nc_u32_e32 v81, 30, v81
	v_lshlrev_b32_e32 v46, v46, v82
	v_cndmask_b32_e32 v81, v47, v81, vcc_lo
	v_and_b32_e32 v46, 3, v46
	v_lshl_add_u32 v81, v81, 23, 0x37800000
	v_cndmask_b32_e32 v52, v52, v46, vcc_lo
	v_and_b32_e32 v46, 0x80000000, v56
	v_lshlrev_b32_e32 v52, 21, v52
	v_or3_b32 v52, v46, v81, v52
.LBB2_533:                              ;   in Loop: Header=BB2_504 Depth=2
	s_or_b32 exec_lo, exec_lo, s24
	v_max_f32_e32 v52, v52, v52
	v_max_f32_e32 v18, v18, v18
	;; [unrolled: 1-line block ×3, first 2 shown]
.LBB2_534:                              ;   in Loop: Header=BB2_504 Depth=2
	s_andn2_saveexec_b32 s11, s11
	s_cbranch_execz .LBB2_548
; %bb.535:                              ;   in Loop: Header=BB2_504 Depth=2
	v_cmp_gt_i16_sdwa s24, v17, v119 src0_sel:BYTE_0 src1_sel:DWORD
	s_mov_b32 s23, 0
	s_and_saveexec_b32 s25, s24
	s_xor_b32 s24, exec_lo, s25
	s_cbranch_execz .LBB2_830
; %bb.536:                              ;   in Loop: Header=BB2_504 Depth=2
	v_cmp_eq_u16_sdwa s26, v17, v40 src0_sel:BYTE_0 src1_sel:DWORD
	s_mov_b32 s23, -1
	s_and_saveexec_b32 s25, s26
; %bb.537:                              ;   in Loop: Header=BB2_504 Depth=2
	s_xor_b32 s23, exec_lo, -1
; %bb.538:                              ;   in Loop: Header=BB2_504 Depth=2
	s_or_b32 exec_lo, exec_lo, s25
	s_and_b32 s23, s23, exec_lo
	s_or_saveexec_b32 s24, s24
	v_mov_b32_e32 v18, 0x7f800001
	s_xor_b32 exec_lo, exec_lo, s24
	s_cbranch_execnz .LBB2_831
.LBB2_539:                              ;   in Loop: Header=BB2_504 Depth=2
	s_or_b32 exec_lo, exec_lo, s24
	s_and_saveexec_b32 s24, s23
	s_cbranch_execz .LBB2_541
.LBB2_540:                              ;   in Loop: Header=BB2_504 Depth=2
	v_and_b32_e32 v18, 3, v17
	v_bfe_u32 v46, v17, 2, 5
	v_lshlrev_b32_e32 v47, 24, v17
	v_ffbh_u32_e32 v52, v18
	v_cmp_eq_u32_e32 vcc_lo, 0, v46
	v_min_u32_e32 v52, 32, v52
	v_subrev_nc_u32_e32 v81, 29, v52
	v_sub_nc_u32_e32 v52, 30, v52
	v_lshlrev_b32_e32 v81, v81, v17
	v_cndmask_b32_e32 v52, v46, v52, vcc_lo
	v_and_b32_e32 v81, 3, v81
	v_lshl_add_u32 v52, v52, 23, 0x37800000
	v_cndmask_b32_e32 v18, v18, v81, vcc_lo
	v_and_b32_e32 v81, 0x80000000, v47
	v_lshlrev_b32_e32 v18, 21, v18
	v_or3_b32 v18, v81, v52, v18
.LBB2_541:                              ;   in Loop: Header=BB2_504 Depth=2
	s_or_b32 exec_lo, exec_lo, s24
	v_cmp_gt_i16_sdwa s24, v82, v119 src0_sel:BYTE_0 src1_sel:DWORD
	s_mov_b32 s23, 0
	s_and_saveexec_b32 s25, s24
	s_xor_b32 s24, exec_lo, s25
	s_cbranch_execz .LBB2_832
; %bb.542:                              ;   in Loop: Header=BB2_504 Depth=2
	v_cmp_eq_u16_sdwa s26, v82, v40 src0_sel:BYTE_0 src1_sel:DWORD
	s_mov_b32 s23, -1
	s_and_saveexec_b32 s25, s26
; %bb.543:                              ;   in Loop: Header=BB2_504 Depth=2
	s_xor_b32 s23, exec_lo, -1
; %bb.544:                              ;   in Loop: Header=BB2_504 Depth=2
	s_or_b32 exec_lo, exec_lo, s25
	s_and_b32 s23, s23, exec_lo
	s_or_saveexec_b32 s24, s24
	v_mov_b32_e32 v52, 0x7f800001
	s_xor_b32 exec_lo, exec_lo, s24
	s_cbranch_execnz .LBB2_833
.LBB2_545:                              ;   in Loop: Header=BB2_504 Depth=2
	s_or_b32 exec_lo, exec_lo, s24
	s_and_saveexec_b32 s24, s23
	s_cbranch_execz .LBB2_547
.LBB2_546:                              ;   in Loop: Header=BB2_504 Depth=2
	v_and_b32_e32 v52, 3, v82
	v_bfe_u32 v47, v82, 2, 5
	v_lshlrev_b32_e32 v56, 24, v82
	v_ffbh_u32_e32 v81, v52
	v_cmp_eq_u32_e32 vcc_lo, 0, v47
	v_min_u32_e32 v81, 32, v81
	v_subrev_nc_u32_e32 v46, 29, v81
	v_sub_nc_u32_e32 v81, 30, v81
	v_lshlrev_b32_e32 v46, v46, v82
	v_cndmask_b32_e32 v81, v47, v81, vcc_lo
	v_and_b32_e32 v46, 3, v46
	v_lshl_add_u32 v81, v81, 23, 0x37800000
	v_cndmask_b32_e32 v52, v52, v46, vcc_lo
	v_and_b32_e32 v46, 0x80000000, v56
	v_lshlrev_b32_e32 v52, 21, v52
	v_or3_b32 v52, v46, v81, v52
.LBB2_547:                              ;   in Loop: Header=BB2_504 Depth=2
	s_or_b32 exec_lo, exec_lo, s24
	v_max_f32_e32 v52, v52, v52
	v_max_f32_e32 v18, v18, v18
	v_min_f32_e32 v52, v18, v52
.LBB2_548:                              ;   in Loop: Header=BB2_504 Depth=2
	s_or_b32 exec_lo, exec_lo, s11
	v_and_b32_e32 v18, 0x7f800000, v52
	v_cmp_ne_u32_e32 vcc_lo, 0x7f800000, v18
	v_mov_b32_e32 v18, 0x80
	s_and_saveexec_b32 s23, vcc_lo
	s_cbranch_execz .LBB2_556
; %bb.549:                              ;   in Loop: Header=BB2_504 Depth=2
	v_mov_b32_e32 v18, 0
	s_mov_b32 s24, exec_lo
	v_cmpx_ne_u32_e32 0, v52
	s_cbranch_execz .LBB2_555
; %bb.550:                              ;   in Loop: Header=BB2_504 Depth=2
	v_bfe_u32 v18, v52, 23, 8
	v_and_b32_e32 v81, 0x7fffff, v52
	v_sub_nc_u32_e32 v46, 0x70, v18
	v_cmp_gt_u32_e32 vcc_lo, 0x71, v18
	v_or_b32_e32 v47, 0x800000, v81
	v_cndmask_b32_e32 v46, 0, v46, vcc_lo
	v_cmp_eq_u32_e32 vcc_lo, 0, v18
	v_add_nc_u32_e32 v18, 0xffffff91, v18
	v_cndmask_b32_e64 v46, v46, 0x6f, vcc_lo
	v_cndmask_b32_e32 v81, v47, v81, vcc_lo
	v_cndmask_b32_e64 v18, v18, 0xffffff92, vcc_lo
	v_lshl_add_u32 v47, 0x200000, v46, -1
	v_lshrrev_b32_e32 v56, v46, v81
	v_lshlrev_b32_e64 v58, v46, 0x100000
	v_add_nc_u32_e32 v46, v46, v18
	v_and_b32_e32 v81, v47, v81
	v_bfe_u32 v57, v56, 21, 1
	v_cmp_eq_u32_e64 s11, v81, v58
	v_add_nc_u32_e32 v47, -1, v57
	v_cndmask_b32_e64 v81, 0, v47, s11
	v_lshrrev_b32_e32 v47, 23, v56
	s_mov_b32 s11, exec_lo
	v_add_nc_u32_e32 v81, v81, v56
	v_xor_b32_e32 v47, 1, v47
	v_and_b32_e32 v18, 0x1fffff, v81
	v_add_nc_u32_e32 v81, v18, v56
                                        ; implicit-def: $vgpr18
	v_cmpx_ne_u32_e64 v46, v47
	s_xor_b32 s11, exec_lo, s11
; %bb.551:                              ;   in Loop: Header=BB2_504 Depth=2
	v_cmp_lt_u32_e32 vcc_lo, 0xffffff, v81
	v_sub_nc_u32_e32 v18, v46, v47
	v_cndmask_b32_e64 v46, 0, 1, vcc_lo
	v_add_co_ci_u32_e64 v18, null, 0, v18, vcc_lo
	v_lshrrev_b32_e32 v81, v46, v81
; %bb.552:                              ;   in Loop: Header=BB2_504 Depth=2
	s_andn2_saveexec_b32 s11, s11
; %bb.553:                              ;   in Loop: Header=BB2_504 Depth=2
	v_bfe_u32 v18, v81, 23, 1
; %bb.554:                              ;   in Loop: Header=BB2_504 Depth=2
	s_or_b32 exec_lo, exec_lo, s11
	v_lshrrev_b32_e32 v81, 21, v81
	v_min_i32_e32 v46, 31, v18
	v_cmp_gt_i32_e32 vcc_lo, 32, v18
	v_and_b32_sdwa v52, v52, v40 dst_sel:DWORD dst_unused:UNUSED_PAD src0_sel:BYTE_3 src1_sel:DWORD
	v_lshlrev_b32_e32 v46, 2, v46
	v_cndmask_b32_e32 v81, 3, v81, vcc_lo
	v_and_b32_e32 v46, 0xfc, v46
	v_and_b32_e32 v47, 3, v81
	v_or_b32_e32 v18, v18, v81
	v_or3_b32 v52, v46, v52, v47
	v_cmp_ne_u32_e32 vcc_lo, 0, v18
	v_cndmask_b32_e32 v18, 0, v52, vcc_lo
.LBB2_555:                              ;   in Loop: Header=BB2_504 Depth=2
	s_or_b32 exec_lo, exec_lo, s24
.LBB2_556:                              ;   in Loop: Header=BB2_504 Depth=2
	s_or_b32 exec_lo, exec_lo, s23
                                        ; implicit-def: $vgpr81
	s_and_saveexec_b32 s11, s9
	s_xor_b32 s11, exec_lo, s11
	s_cbranch_execz .LBB2_570
; %bb.557:                              ;   in Loop: Header=BB2_504 Depth=2
	v_cmp_gt_i16_sdwa s24, v17, v119 src0_sel:BYTE_1 src1_sel:DWORD
	s_mov_b32 s23, 0
	s_and_saveexec_b32 s25, s24
	s_xor_b32 s24, exec_lo, s25
	s_cbranch_execz .LBB2_834
; %bb.558:                              ;   in Loop: Header=BB2_504 Depth=2
	v_cmp_eq_u16_sdwa s26, v17, v40 src0_sel:BYTE_1 src1_sel:DWORD
	s_mov_b32 s23, -1
	s_and_saveexec_b32 s25, s26
; %bb.559:                              ;   in Loop: Header=BB2_504 Depth=2
	s_xor_b32 s23, exec_lo, -1
; %bb.560:                              ;   in Loop: Header=BB2_504 Depth=2
	s_or_b32 exec_lo, exec_lo, s25
	s_and_b32 s23, s23, exec_lo
	s_or_saveexec_b32 s24, s24
	v_mov_b32_e32 v52, 0x7f800001
	s_xor_b32 exec_lo, exec_lo, s24
	s_cbranch_execnz .LBB2_835
.LBB2_561:                              ;   in Loop: Header=BB2_504 Depth=2
	s_or_b32 exec_lo, exec_lo, s24
	s_and_saveexec_b32 s24, s23
	s_cbranch_execz .LBB2_563
.LBB2_562:                              ;   in Loop: Header=BB2_504 Depth=2
	v_and_b32_sdwa v52, v41, v17 dst_sel:DWORD dst_unused:UNUSED_PAD src0_sel:DWORD src1_sel:BYTE_1
	v_and_b32_e32 v81, 3, v52
	v_bfe_u32 v56, v52, 2, 5
	v_ffbh_u32_e32 v46, v81
	v_cmp_eq_u32_e32 vcc_lo, 0, v56
	v_min_u32_e32 v46, 32, v46
	v_subrev_nc_u32_e32 v47, 29, v46
	v_sub_nc_u32_e32 v46, 30, v46
	v_lshlrev_b32_e32 v52, v47, v52
	v_lshlrev_b32_e32 v47, 16, v17
	v_cndmask_b32_e32 v46, v56, v46, vcc_lo
	v_and_b32_e32 v52, 3, v52
	v_lshl_add_u32 v46, v46, 23, 0x37800000
	v_cndmask_b32_e32 v52, v81, v52, vcc_lo
	v_and_b32_e32 v81, 0x80000000, v47
	v_lshlrev_b32_e32 v52, 21, v52
	v_or3_b32 v52, v81, v46, v52
.LBB2_563:                              ;   in Loop: Header=BB2_504 Depth=2
	s_or_b32 exec_lo, exec_lo, s24
	v_cmp_gt_i16_sdwa s24, v82, v119 src0_sel:BYTE_1 src1_sel:DWORD
	s_mov_b32 s23, 0
	s_and_saveexec_b32 s25, s24
	s_xor_b32 s24, exec_lo, s25
	s_cbranch_execz .LBB2_836
; %bb.564:                              ;   in Loop: Header=BB2_504 Depth=2
	v_cmp_eq_u16_sdwa s26, v82, v40 src0_sel:BYTE_1 src1_sel:DWORD
	s_mov_b32 s23, -1
	s_and_saveexec_b32 s25, s26
; %bb.565:                              ;   in Loop: Header=BB2_504 Depth=2
	s_xor_b32 s23, exec_lo, -1
; %bb.566:                              ;   in Loop: Header=BB2_504 Depth=2
	s_or_b32 exec_lo, exec_lo, s25
	s_and_b32 s23, s23, exec_lo
	s_or_saveexec_b32 s24, s24
	v_mov_b32_e32 v81, 0x7f800001
	s_xor_b32 exec_lo, exec_lo, s24
	s_cbranch_execnz .LBB2_837
.LBB2_567:                              ;   in Loop: Header=BB2_504 Depth=2
	s_or_b32 exec_lo, exec_lo, s24
	s_and_saveexec_b32 s24, s23
	s_cbranch_execz .LBB2_569
.LBB2_568:                              ;   in Loop: Header=BB2_504 Depth=2
	v_and_b32_sdwa v81, v41, v82 dst_sel:DWORD dst_unused:UNUSED_PAD src0_sel:DWORD src1_sel:BYTE_1
	v_and_b32_e32 v46, 3, v81
	v_bfe_u32 v57, v81, 2, 5
	v_ffbh_u32_e32 v47, v46
	v_cmp_eq_u32_e32 vcc_lo, 0, v57
	v_min_u32_e32 v47, 32, v47
	v_subrev_nc_u32_e32 v56, 29, v47
	v_sub_nc_u32_e32 v47, 30, v47
	v_lshlrev_b32_e32 v81, v56, v81
	v_lshlrev_b32_e32 v56, 16, v82
	v_cndmask_b32_e32 v47, v57, v47, vcc_lo
	v_and_b32_e32 v81, 3, v81
	v_lshl_add_u32 v47, v47, 23, 0x37800000
	v_cndmask_b32_e32 v81, v46, v81, vcc_lo
	v_and_b32_e32 v46, 0x80000000, v56
	v_lshlrev_b32_e32 v81, 21, v81
	v_or3_b32 v81, v46, v47, v81
.LBB2_569:                              ;   in Loop: Header=BB2_504 Depth=2
	s_or_b32 exec_lo, exec_lo, s24
	v_max_f32_e32 v81, v81, v81
	v_max_f32_e32 v52, v52, v52
	;; [unrolled: 1-line block ×3, first 2 shown]
	s_andn2_saveexec_b32 s11, s11
	s_cbranch_execz .LBB2_584
	s_branch .LBB2_571
.LBB2_570:                              ;   in Loop: Header=BB2_504 Depth=2
	s_andn2_saveexec_b32 s11, s11
	s_cbranch_execz .LBB2_584
.LBB2_571:                              ;   in Loop: Header=BB2_504 Depth=2
	v_cmp_gt_i16_sdwa s24, v17, v119 src0_sel:BYTE_1 src1_sel:DWORD
	s_mov_b32 s23, 0
	s_and_saveexec_b32 s25, s24
	s_xor_b32 s24, exec_lo, s25
	s_cbranch_execz .LBB2_838
; %bb.572:                              ;   in Loop: Header=BB2_504 Depth=2
	v_cmp_eq_u16_sdwa s26, v17, v40 src0_sel:BYTE_1 src1_sel:DWORD
	s_mov_b32 s23, -1
	s_and_saveexec_b32 s25, s26
; %bb.573:                              ;   in Loop: Header=BB2_504 Depth=2
	s_xor_b32 s23, exec_lo, -1
; %bb.574:                              ;   in Loop: Header=BB2_504 Depth=2
	s_or_b32 exec_lo, exec_lo, s25
	s_and_b32 s23, s23, exec_lo
	s_or_saveexec_b32 s24, s24
	v_mov_b32_e32 v52, 0x7f800001
	s_xor_b32 exec_lo, exec_lo, s24
	s_cbranch_execnz .LBB2_839
.LBB2_575:                              ;   in Loop: Header=BB2_504 Depth=2
	s_or_b32 exec_lo, exec_lo, s24
	s_and_saveexec_b32 s24, s23
	s_cbranch_execz .LBB2_577
.LBB2_576:                              ;   in Loop: Header=BB2_504 Depth=2
	v_and_b32_sdwa v52, v41, v17 dst_sel:DWORD dst_unused:UNUSED_PAD src0_sel:DWORD src1_sel:BYTE_1
	v_and_b32_e32 v81, 3, v52
	v_bfe_u32 v56, v52, 2, 5
	v_ffbh_u32_e32 v46, v81
	v_cmp_eq_u32_e32 vcc_lo, 0, v56
	v_min_u32_e32 v46, 32, v46
	v_subrev_nc_u32_e32 v47, 29, v46
	v_sub_nc_u32_e32 v46, 30, v46
	v_lshlrev_b32_e32 v52, v47, v52
	v_lshlrev_b32_e32 v47, 16, v17
	v_cndmask_b32_e32 v46, v56, v46, vcc_lo
	v_and_b32_e32 v52, 3, v52
	v_lshl_add_u32 v46, v46, 23, 0x37800000
	v_cndmask_b32_e32 v52, v81, v52, vcc_lo
	v_and_b32_e32 v81, 0x80000000, v47
	v_lshlrev_b32_e32 v52, 21, v52
	v_or3_b32 v52, v81, v46, v52
.LBB2_577:                              ;   in Loop: Header=BB2_504 Depth=2
	s_or_b32 exec_lo, exec_lo, s24
	v_cmp_gt_i16_sdwa s24, v82, v119 src0_sel:BYTE_1 src1_sel:DWORD
	s_mov_b32 s23, 0
	s_and_saveexec_b32 s25, s24
	s_xor_b32 s24, exec_lo, s25
	s_cbranch_execz .LBB2_840
; %bb.578:                              ;   in Loop: Header=BB2_504 Depth=2
	v_cmp_eq_u16_sdwa s26, v82, v40 src0_sel:BYTE_1 src1_sel:DWORD
	s_mov_b32 s23, -1
	s_and_saveexec_b32 s25, s26
; %bb.579:                              ;   in Loop: Header=BB2_504 Depth=2
	s_xor_b32 s23, exec_lo, -1
; %bb.580:                              ;   in Loop: Header=BB2_504 Depth=2
	s_or_b32 exec_lo, exec_lo, s25
	s_and_b32 s23, s23, exec_lo
	s_or_saveexec_b32 s24, s24
	v_mov_b32_e32 v81, 0x7f800001
	s_xor_b32 exec_lo, exec_lo, s24
	s_cbranch_execnz .LBB2_841
.LBB2_581:                              ;   in Loop: Header=BB2_504 Depth=2
	s_or_b32 exec_lo, exec_lo, s24
	s_and_saveexec_b32 s24, s23
	s_cbranch_execz .LBB2_583
.LBB2_582:                              ;   in Loop: Header=BB2_504 Depth=2
	v_and_b32_sdwa v81, v41, v82 dst_sel:DWORD dst_unused:UNUSED_PAD src0_sel:DWORD src1_sel:BYTE_1
	v_and_b32_e32 v46, 3, v81
	v_bfe_u32 v57, v81, 2, 5
	v_ffbh_u32_e32 v47, v46
	v_cmp_eq_u32_e32 vcc_lo, 0, v57
	v_min_u32_e32 v47, 32, v47
	v_subrev_nc_u32_e32 v56, 29, v47
	v_sub_nc_u32_e32 v47, 30, v47
	v_lshlrev_b32_e32 v81, v56, v81
	v_lshlrev_b32_e32 v56, 16, v82
	v_cndmask_b32_e32 v47, v57, v47, vcc_lo
	v_and_b32_e32 v81, 3, v81
	v_lshl_add_u32 v47, v47, 23, 0x37800000
	v_cndmask_b32_e32 v81, v46, v81, vcc_lo
	v_and_b32_e32 v46, 0x80000000, v56
	v_lshlrev_b32_e32 v81, 21, v81
	v_or3_b32 v81, v46, v47, v81
.LBB2_583:                              ;   in Loop: Header=BB2_504 Depth=2
	s_or_b32 exec_lo, exec_lo, s24
	v_max_f32_e32 v81, v81, v81
	v_max_f32_e32 v52, v52, v52
	v_min_f32_e32 v81, v52, v81
.LBB2_584:                              ;   in Loop: Header=BB2_504 Depth=2
	s_or_b32 exec_lo, exec_lo, s11
	v_and_b32_e32 v52, 0x7f800000, v81
	v_cmp_ne_u32_e32 vcc_lo, 0x7f800000, v52
	v_mov_b32_e32 v52, 0x8000
	s_and_saveexec_b32 s23, vcc_lo
	s_cbranch_execz .LBB2_592
; %bb.585:                              ;   in Loop: Header=BB2_504 Depth=2
	v_mov_b32_e32 v52, 0
	s_mov_b32 s24, exec_lo
	v_cmpx_ne_u32_e32 0, v81
	s_cbranch_execz .LBB2_591
; %bb.586:                              ;   in Loop: Header=BB2_504 Depth=2
	v_bfe_u32 v52, v81, 23, 8
	v_and_b32_e32 v46, 0x7fffff, v81
	v_sub_nc_u32_e32 v47, 0x70, v52
	v_cmp_gt_u32_e32 vcc_lo, 0x71, v52
	v_or_b32_e32 v56, 0x800000, v46
	v_cndmask_b32_e32 v47, 0, v47, vcc_lo
	v_cmp_eq_u32_e32 vcc_lo, 0, v52
	v_add_nc_u32_e32 v52, 0xffffff91, v52
	v_cndmask_b32_e64 v47, v47, 0x6f, vcc_lo
	v_cndmask_b32_e32 v46, v56, v46, vcc_lo
	v_cndmask_b32_e64 v52, v52, 0xffffff92, vcc_lo
	v_lshl_add_u32 v56, 0x200000, v47, -1
	v_lshrrev_b32_e32 v57, v47, v46
	v_lshlrev_b32_e64 v59, v47, 0x100000
	v_add_nc_u32_e32 v47, v47, v52
	v_and_b32_e32 v46, v56, v46
	v_bfe_u32 v58, v57, 21, 1
	v_cmp_eq_u32_e64 s11, v46, v59
	v_add_nc_u32_e32 v56, -1, v58
	v_cndmask_b32_e64 v46, 0, v56, s11
	v_lshrrev_b32_e32 v56, 23, v57
	s_mov_b32 s11, exec_lo
	v_add_nc_u32_e32 v46, v46, v57
	v_xor_b32_e32 v56, 1, v56
	v_and_b32_e32 v52, 0x1fffff, v46
	v_add_nc_u32_e32 v46, v52, v57
                                        ; implicit-def: $vgpr52
	v_cmpx_ne_u32_e64 v47, v56
	s_xor_b32 s11, exec_lo, s11
; %bb.587:                              ;   in Loop: Header=BB2_504 Depth=2
	v_cmp_lt_u32_e32 vcc_lo, 0xffffff, v46
	v_sub_nc_u32_e32 v52, v47, v56
	v_cndmask_b32_e64 v47, 0, 1, vcc_lo
	v_add_co_ci_u32_e64 v52, null, 0, v52, vcc_lo
	v_lshrrev_b32_e32 v46, v47, v46
; %bb.588:                              ;   in Loop: Header=BB2_504 Depth=2
	s_andn2_saveexec_b32 s11, s11
; %bb.589:                              ;   in Loop: Header=BB2_504 Depth=2
	v_bfe_u32 v52, v46, 23, 1
; %bb.590:                              ;   in Loop: Header=BB2_504 Depth=2
	s_or_b32 exec_lo, exec_lo, s11
	v_lshrrev_b32_e32 v46, 21, v46
	v_min_i32_e32 v47, 31, v52
	v_cmp_gt_i32_e32 vcc_lo, 32, v52
	v_and_b32_sdwa v81, v81, v40 dst_sel:DWORD dst_unused:UNUSED_PAD src0_sel:BYTE_3 src1_sel:DWORD
	v_lshlrev_b32_e32 v47, 2, v47
	v_cndmask_b32_e32 v46, 3, v46, vcc_lo
	v_and_b32_e32 v47, 0xfc, v47
	v_and_b32_e32 v56, 3, v46
	v_or_b32_e32 v52, v52, v46
	v_or3_b32 v81, v81, v47, v56
	v_cmp_ne_u32_e32 vcc_lo, 0, v52
	v_lshlrev_b32_e32 v81, 8, v81
	v_cndmask_b32_e32 v52, 0, v81, vcc_lo
.LBB2_591:                              ;   in Loop: Header=BB2_504 Depth=2
	s_or_b32 exec_lo, exec_lo, s24
.LBB2_592:                              ;   in Loop: Header=BB2_504 Depth=2
	s_or_b32 exec_lo, exec_lo, s23
                                        ; implicit-def: $vgpr46
	s_and_saveexec_b32 s11, s9
	s_xor_b32 s11, exec_lo, s11
	s_cbranch_execz .LBB2_606
; %bb.593:                              ;   in Loop: Header=BB2_504 Depth=2
	v_and_b32_sdwa v46, v17, v42 dst_sel:DWORD dst_unused:UNUSED_PAD src0_sel:WORD_1 src1_sel:DWORD
	s_mov_b32 s23, 0
	s_mov_b32 s24, exec_lo
	v_cmpx_lt_i16_e32 0x7f, v46
	s_xor_b32 s24, exec_lo, s24
	s_cbranch_execz .LBB2_842
; %bb.594:                              ;   in Loop: Header=BB2_504 Depth=2
	s_mov_b32 s23, -1
	s_mov_b32 s25, exec_lo
	v_cmpx_eq_u16_e32 0x80, v46
; %bb.595:                              ;   in Loop: Header=BB2_504 Depth=2
	s_xor_b32 s23, exec_lo, -1
; %bb.596:                              ;   in Loop: Header=BB2_504 Depth=2
	s_or_b32 exec_lo, exec_lo, s25
	s_and_b32 s23, s23, exec_lo
                                        ; implicit-def: $vgpr46
	s_or_saveexec_b32 s24, s24
	v_mov_b32_e32 v81, 0x7f800001
	s_xor_b32 exec_lo, exec_lo, s24
	s_cbranch_execnz .LBB2_843
.LBB2_597:                              ;   in Loop: Header=BB2_504 Depth=2
	s_or_b32 exec_lo, exec_lo, s24
	s_and_saveexec_b32 s24, s23
	s_cbranch_execz .LBB2_599
.LBB2_598:                              ;   in Loop: Header=BB2_504 Depth=2
	v_bfe_u32 v81, v17, 16, 2
	v_bfe_u32 v56, v17, 18, 5
	v_lshlrev_b32_sdwa v57, v43, v17 dst_sel:DWORD dst_unused:UNUSED_PAD src0_sel:DWORD src1_sel:WORD_1
	v_ffbh_u32_e32 v46, v81
	v_cmp_eq_u32_e32 vcc_lo, 0, v56
	v_min_u32_e32 v46, 32, v46
	v_subrev_nc_u32_e32 v47, 29, v46
	v_sub_nc_u32_e32 v46, 30, v46
	v_lshlrev_b32_sdwa v47, v47, v17 dst_sel:DWORD dst_unused:UNUSED_PAD src0_sel:DWORD src1_sel:WORD_1
	v_cndmask_b32_e32 v46, v56, v46, vcc_lo
	v_and_b32_e32 v47, 3, v47
	v_lshl_add_u32 v46, v46, 23, 0x37800000
	v_cndmask_b32_e32 v81, v81, v47, vcc_lo
	v_and_b32_e32 v47, 0x80000000, v57
	v_lshlrev_b32_e32 v81, 21, v81
	v_or3_b32 v81, v47, v46, v81
.LBB2_599:                              ;   in Loop: Header=BB2_504 Depth=2
	s_or_b32 exec_lo, exec_lo, s24
	v_and_b32_sdwa v47, v82, v42 dst_sel:DWORD dst_unused:UNUSED_PAD src0_sel:WORD_1 src1_sel:DWORD
	s_mov_b32 s23, 0
	s_mov_b32 s24, exec_lo
	v_cmpx_lt_i16_e32 0x7f, v47
	s_xor_b32 s24, exec_lo, s24
	s_cbranch_execz .LBB2_844
; %bb.600:                              ;   in Loop: Header=BB2_504 Depth=2
	s_mov_b32 s23, -1
	s_mov_b32 s25, exec_lo
	v_cmpx_eq_u16_e32 0x80, v47
; %bb.601:                              ;   in Loop: Header=BB2_504 Depth=2
	s_xor_b32 s23, exec_lo, -1
; %bb.602:                              ;   in Loop: Header=BB2_504 Depth=2
	s_or_b32 exec_lo, exec_lo, s25
	s_and_b32 s23, s23, exec_lo
                                        ; implicit-def: $vgpr47
	s_or_saveexec_b32 s24, s24
	v_mov_b32_e32 v46, 0x7f800001
	s_xor_b32 exec_lo, exec_lo, s24
	s_cbranch_execnz .LBB2_845
.LBB2_603:                              ;   in Loop: Header=BB2_504 Depth=2
	s_or_b32 exec_lo, exec_lo, s24
	s_and_saveexec_b32 s24, s23
	s_cbranch_execz .LBB2_605
.LBB2_604:                              ;   in Loop: Header=BB2_504 Depth=2
	v_bfe_u32 v46, v82, 16, 2
	v_bfe_u32 v57, v82, 18, 5
	v_lshlrev_b32_sdwa v58, v43, v82 dst_sel:DWORD dst_unused:UNUSED_PAD src0_sel:DWORD src1_sel:WORD_1
	v_ffbh_u32_e32 v47, v46
	v_cmp_eq_u32_e32 vcc_lo, 0, v57
	v_min_u32_e32 v47, 32, v47
	v_subrev_nc_u32_e32 v56, 29, v47
	v_sub_nc_u32_e32 v47, 30, v47
	v_lshlrev_b32_sdwa v56, v56, v82 dst_sel:DWORD dst_unused:UNUSED_PAD src0_sel:DWORD src1_sel:WORD_1
	v_cndmask_b32_e32 v47, v57, v47, vcc_lo
	v_and_b32_e32 v56, 3, v56
	v_lshl_add_u32 v47, v47, 23, 0x37800000
	v_cndmask_b32_e32 v46, v46, v56, vcc_lo
	v_and_b32_e32 v56, 0x80000000, v58
	v_lshlrev_b32_e32 v46, 21, v46
	v_or3_b32 v46, v56, v47, v46
.LBB2_605:                              ;   in Loop: Header=BB2_504 Depth=2
	s_or_b32 exec_lo, exec_lo, s24
	v_max_f32_e32 v46, v46, v46
	v_max_f32_e32 v81, v81, v81
	;; [unrolled: 1-line block ×3, first 2 shown]
	s_andn2_saveexec_b32 s11, s11
	s_cbranch_execz .LBB2_620
	s_branch .LBB2_607
.LBB2_606:                              ;   in Loop: Header=BB2_504 Depth=2
	s_andn2_saveexec_b32 s11, s11
	s_cbranch_execz .LBB2_620
.LBB2_607:                              ;   in Loop: Header=BB2_504 Depth=2
	v_and_b32_sdwa v46, v17, v42 dst_sel:DWORD dst_unused:UNUSED_PAD src0_sel:WORD_1 src1_sel:DWORD
	s_mov_b32 s23, 0
	s_mov_b32 s24, exec_lo
	v_cmpx_lt_i16_e32 0x7f, v46
	s_xor_b32 s24, exec_lo, s24
	s_cbranch_execz .LBB2_846
; %bb.608:                              ;   in Loop: Header=BB2_504 Depth=2
	s_mov_b32 s23, -1
	s_mov_b32 s25, exec_lo
	v_cmpx_eq_u16_e32 0x80, v46
; %bb.609:                              ;   in Loop: Header=BB2_504 Depth=2
	s_xor_b32 s23, exec_lo, -1
; %bb.610:                              ;   in Loop: Header=BB2_504 Depth=2
	s_or_b32 exec_lo, exec_lo, s25
	s_and_b32 s23, s23, exec_lo
                                        ; implicit-def: $vgpr46
	s_or_saveexec_b32 s24, s24
	v_mov_b32_e32 v81, 0x7f800001
	s_xor_b32 exec_lo, exec_lo, s24
	s_cbranch_execnz .LBB2_847
.LBB2_611:                              ;   in Loop: Header=BB2_504 Depth=2
	s_or_b32 exec_lo, exec_lo, s24
	s_and_saveexec_b32 s24, s23
	s_cbranch_execz .LBB2_613
.LBB2_612:                              ;   in Loop: Header=BB2_504 Depth=2
	v_bfe_u32 v81, v17, 16, 2
	v_bfe_u32 v56, v17, 18, 5
	v_lshlrev_b32_sdwa v57, v43, v17 dst_sel:DWORD dst_unused:UNUSED_PAD src0_sel:DWORD src1_sel:WORD_1
	v_ffbh_u32_e32 v46, v81
	v_cmp_eq_u32_e32 vcc_lo, 0, v56
	v_min_u32_e32 v46, 32, v46
	v_subrev_nc_u32_e32 v47, 29, v46
	v_sub_nc_u32_e32 v46, 30, v46
	v_lshlrev_b32_sdwa v47, v47, v17 dst_sel:DWORD dst_unused:UNUSED_PAD src0_sel:DWORD src1_sel:WORD_1
	v_cndmask_b32_e32 v46, v56, v46, vcc_lo
	v_and_b32_e32 v47, 3, v47
	v_lshl_add_u32 v46, v46, 23, 0x37800000
	v_cndmask_b32_e32 v81, v81, v47, vcc_lo
	v_and_b32_e32 v47, 0x80000000, v57
	v_lshlrev_b32_e32 v81, 21, v81
	v_or3_b32 v81, v47, v46, v81
.LBB2_613:                              ;   in Loop: Header=BB2_504 Depth=2
	s_or_b32 exec_lo, exec_lo, s24
	v_and_b32_sdwa v47, v82, v42 dst_sel:DWORD dst_unused:UNUSED_PAD src0_sel:WORD_1 src1_sel:DWORD
	s_mov_b32 s23, 0
	s_mov_b32 s24, exec_lo
	v_cmpx_lt_i16_e32 0x7f, v47
	s_xor_b32 s24, exec_lo, s24
	s_cbranch_execz .LBB2_848
; %bb.614:                              ;   in Loop: Header=BB2_504 Depth=2
	s_mov_b32 s23, -1
	s_mov_b32 s25, exec_lo
	v_cmpx_eq_u16_e32 0x80, v47
; %bb.615:                              ;   in Loop: Header=BB2_504 Depth=2
	s_xor_b32 s23, exec_lo, -1
; %bb.616:                              ;   in Loop: Header=BB2_504 Depth=2
	s_or_b32 exec_lo, exec_lo, s25
	s_and_b32 s23, s23, exec_lo
                                        ; implicit-def: $vgpr47
	s_or_saveexec_b32 s24, s24
	v_mov_b32_e32 v46, 0x7f800001
	s_xor_b32 exec_lo, exec_lo, s24
	s_cbranch_execnz .LBB2_849
.LBB2_617:                              ;   in Loop: Header=BB2_504 Depth=2
	s_or_b32 exec_lo, exec_lo, s24
	s_and_saveexec_b32 s24, s23
	s_cbranch_execz .LBB2_619
.LBB2_618:                              ;   in Loop: Header=BB2_504 Depth=2
	v_bfe_u32 v46, v82, 16, 2
	v_bfe_u32 v57, v82, 18, 5
	v_lshlrev_b32_sdwa v58, v43, v82 dst_sel:DWORD dst_unused:UNUSED_PAD src0_sel:DWORD src1_sel:WORD_1
	v_ffbh_u32_e32 v47, v46
	v_cmp_eq_u32_e32 vcc_lo, 0, v57
	v_min_u32_e32 v47, 32, v47
	v_subrev_nc_u32_e32 v56, 29, v47
	v_sub_nc_u32_e32 v47, 30, v47
	v_lshlrev_b32_sdwa v56, v56, v82 dst_sel:DWORD dst_unused:UNUSED_PAD src0_sel:DWORD src1_sel:WORD_1
	v_cndmask_b32_e32 v47, v57, v47, vcc_lo
	v_and_b32_e32 v56, 3, v56
	v_lshl_add_u32 v47, v47, 23, 0x37800000
	v_cndmask_b32_e32 v46, v46, v56, vcc_lo
	v_and_b32_e32 v56, 0x80000000, v58
	v_lshlrev_b32_e32 v46, 21, v46
	v_or3_b32 v46, v56, v47, v46
.LBB2_619:                              ;   in Loop: Header=BB2_504 Depth=2
	s_or_b32 exec_lo, exec_lo, s24
	v_max_f32_e32 v46, v46, v46
	v_max_f32_e32 v81, v81, v81
	v_min_f32_e32 v46, v81, v46
.LBB2_620:                              ;   in Loop: Header=BB2_504 Depth=2
	s_or_b32 exec_lo, exec_lo, s11
	v_and_b32_e32 v81, 0x7f800000, v46
	v_cmp_ne_u32_e32 vcc_lo, 0x7f800000, v81
	v_mov_b32_e32 v81, 0x80
	s_and_saveexec_b32 s23, vcc_lo
	s_cbranch_execz .LBB2_628
; %bb.621:                              ;   in Loop: Header=BB2_504 Depth=2
	v_mov_b32_e32 v81, 0
	s_mov_b32 s24, exec_lo
	v_cmpx_ne_u32_e32 0, v46
	s_cbranch_execz .LBB2_627
; %bb.622:                              ;   in Loop: Header=BB2_504 Depth=2
	v_bfe_u32 v81, v46, 23, 8
	v_and_b32_e32 v47, 0x7fffff, v46
	v_sub_nc_u32_e32 v56, 0x70, v81
	v_cmp_gt_u32_e32 vcc_lo, 0x71, v81
	v_or_b32_e32 v57, 0x800000, v47
	v_cndmask_b32_e32 v56, 0, v56, vcc_lo
	v_cmp_eq_u32_e32 vcc_lo, 0, v81
	v_add_nc_u32_e32 v81, 0xffffff91, v81
	v_cndmask_b32_e64 v56, v56, 0x6f, vcc_lo
	v_cndmask_b32_e32 v47, v57, v47, vcc_lo
	v_cndmask_b32_e64 v81, v81, 0xffffff92, vcc_lo
	v_lshl_add_u32 v57, 0x200000, v56, -1
	v_lshrrev_b32_e32 v58, v56, v47
	v_lshlrev_b32_e64 v60, v56, 0x100000
	v_add_nc_u32_e32 v56, v56, v81
	v_and_b32_e32 v47, v57, v47
	v_bfe_u32 v59, v58, 21, 1
	v_cmp_eq_u32_e64 s11, v47, v60
	v_add_nc_u32_e32 v57, -1, v59
	v_cndmask_b32_e64 v47, 0, v57, s11
	v_lshrrev_b32_e32 v57, 23, v58
	s_mov_b32 s11, exec_lo
	v_add_nc_u32_e32 v47, v47, v58
	v_xor_b32_e32 v57, 1, v57
	v_and_b32_e32 v81, 0x1fffff, v47
	v_add_nc_u32_e32 v47, v81, v58
                                        ; implicit-def: $vgpr81
	v_cmpx_ne_u32_e64 v56, v57
	s_xor_b32 s11, exec_lo, s11
; %bb.623:                              ;   in Loop: Header=BB2_504 Depth=2
	v_cmp_lt_u32_e32 vcc_lo, 0xffffff, v47
	v_sub_nc_u32_e32 v81, v56, v57
	v_cndmask_b32_e64 v56, 0, 1, vcc_lo
	v_add_co_ci_u32_e64 v81, null, 0, v81, vcc_lo
	v_lshrrev_b32_e32 v47, v56, v47
; %bb.624:                              ;   in Loop: Header=BB2_504 Depth=2
	s_andn2_saveexec_b32 s11, s11
; %bb.625:                              ;   in Loop: Header=BB2_504 Depth=2
	v_bfe_u32 v81, v47, 23, 1
; %bb.626:                              ;   in Loop: Header=BB2_504 Depth=2
	s_or_b32 exec_lo, exec_lo, s11
	v_lshrrev_b32_e32 v47, 21, v47
	v_min_i32_e32 v56, 31, v81
	v_cmp_gt_i32_e32 vcc_lo, 32, v81
	v_and_b32_sdwa v46, v46, v40 dst_sel:DWORD dst_unused:UNUSED_PAD src0_sel:BYTE_3 src1_sel:DWORD
	v_lshlrev_b32_e32 v56, 2, v56
	v_cndmask_b32_e32 v47, 3, v47, vcc_lo
	v_and_b32_e32 v56, 0xfc, v56
	v_and_b32_e32 v57, 3, v47
	v_or_b32_e32 v81, v81, v47
	v_or3_b32 v46, v56, v46, v57
	v_cmp_ne_u32_e32 vcc_lo, 0, v81
	v_cndmask_b32_e32 v81, 0, v46, vcc_lo
.LBB2_627:                              ;   in Loop: Header=BB2_504 Depth=2
	s_or_b32 exec_lo, exec_lo, s24
.LBB2_628:                              ;   in Loop: Header=BB2_504 Depth=2
	s_or_b32 exec_lo, exec_lo, s23
                                        ; implicit-def: $vgpr46
	s_and_saveexec_b32 s11, s9
	s_xor_b32 s11, exec_lo, s11
	s_cbranch_execz .LBB2_642
; %bb.629:                              ;   in Loop: Header=BB2_504 Depth=2
	v_cmp_gt_i16_sdwa s24, v17, v119 src0_sel:BYTE_3 src1_sel:DWORD
	s_mov_b32 s23, 0
	s_and_saveexec_b32 s25, s24
	s_xor_b32 s24, exec_lo, s25
	s_cbranch_execz .LBB2_850
; %bb.630:                              ;   in Loop: Header=BB2_504 Depth=2
	v_cmp_eq_u16_sdwa s26, v17, v40 src0_sel:BYTE_3 src1_sel:DWORD
	s_mov_b32 s23, -1
	s_and_saveexec_b32 s25, s26
; %bb.631:                              ;   in Loop: Header=BB2_504 Depth=2
	s_xor_b32 s23, exec_lo, -1
; %bb.632:                              ;   in Loop: Header=BB2_504 Depth=2
	s_or_b32 exec_lo, exec_lo, s25
	s_and_b32 s23, s23, exec_lo
	s_or_saveexec_b32 s24, s24
	v_mov_b32_e32 v46, 0x7f800001
	s_xor_b32 exec_lo, exec_lo, s24
	s_cbranch_execnz .LBB2_851
.LBB2_633:                              ;   in Loop: Header=BB2_504 Depth=2
	s_or_b32 exec_lo, exec_lo, s24
	s_and_saveexec_b32 s24, s23
	s_cbranch_execz .LBB2_635
.LBB2_634:                              ;   in Loop: Header=BB2_504 Depth=2
	v_bfe_u32 v46, v17, 24, 2
	v_bfe_u32 v57, v17, 26, 5
	v_ffbh_u32_e32 v47, v46
	v_cmp_eq_u32_e32 vcc_lo, 0, v57
	v_min_u32_e32 v47, 32, v47
	v_subrev_nc_u32_e32 v56, 29, v47
	v_sub_nc_u32_e32 v47, 30, v47
	v_lshlrev_b32_sdwa v56, v56, v17 dst_sel:DWORD dst_unused:UNUSED_PAD src0_sel:DWORD src1_sel:BYTE_3
	v_cndmask_b32_e32 v47, v57, v47, vcc_lo
	v_and_b32_e32 v17, 0x80000000, v17
	v_and_b32_e32 v56, 3, v56
	v_lshl_add_u32 v47, v47, 23, 0x37800000
	v_cndmask_b32_e32 v46, v46, v56, vcc_lo
	v_lshlrev_b32_e32 v46, 21, v46
	v_or3_b32 v46, v17, v47, v46
.LBB2_635:                              ;   in Loop: Header=BB2_504 Depth=2
	s_or_b32 exec_lo, exec_lo, s24
	v_cmp_gt_i16_sdwa s24, v82, v119 src0_sel:BYTE_3 src1_sel:DWORD
	s_mov_b32 s23, 0
	s_and_saveexec_b32 s25, s24
	s_xor_b32 s24, exec_lo, s25
	s_cbranch_execz .LBB2_852
; %bb.636:                              ;   in Loop: Header=BB2_504 Depth=2
	v_cmp_eq_u16_sdwa s26, v82, v40 src0_sel:BYTE_3 src1_sel:DWORD
	s_mov_b32 s23, -1
	s_and_saveexec_b32 s25, s26
; %bb.637:                              ;   in Loop: Header=BB2_504 Depth=2
	s_xor_b32 s23, exec_lo, -1
; %bb.638:                              ;   in Loop: Header=BB2_504 Depth=2
	s_or_b32 exec_lo, exec_lo, s25
	s_and_b32 s23, s23, exec_lo
	s_or_saveexec_b32 s24, s24
	v_mov_b32_e32 v17, 0x7f800001
	s_xor_b32 exec_lo, exec_lo, s24
	s_cbranch_execnz .LBB2_853
.LBB2_639:                              ;   in Loop: Header=BB2_504 Depth=2
	s_or_b32 exec_lo, exec_lo, s24
	s_and_saveexec_b32 s24, s23
	s_cbranch_execz .LBB2_641
.LBB2_640:                              ;   in Loop: Header=BB2_504 Depth=2
	v_bfe_u32 v17, v82, 24, 2
	v_bfe_u32 v57, v82, 26, 5
	v_ffbh_u32_e32 v47, v17
	v_cmp_eq_u32_e32 vcc_lo, 0, v57
	v_min_u32_e32 v47, 32, v47
	v_subrev_nc_u32_e32 v56, 29, v47
	v_sub_nc_u32_e32 v47, 30, v47
	v_lshlrev_b32_sdwa v56, v56, v82 dst_sel:DWORD dst_unused:UNUSED_PAD src0_sel:DWORD src1_sel:BYTE_3
	v_cndmask_b32_e32 v47, v57, v47, vcc_lo
	v_and_b32_e32 v82, 0x80000000, v82
	v_and_b32_e32 v56, 3, v56
	v_lshl_add_u32 v47, v47, 23, 0x37800000
	v_cndmask_b32_e32 v17, v17, v56, vcc_lo
	v_lshlrev_b32_e32 v17, 21, v17
	v_or3_b32 v17, v82, v47, v17
.LBB2_641:                              ;   in Loop: Header=BB2_504 Depth=2
	s_or_b32 exec_lo, exec_lo, s24
	v_max_f32_e32 v17, v17, v17
	v_max_f32_e32 v82, v46, v46
	;; [unrolled: 1-line block ×3, first 2 shown]
                                        ; implicit-def: $vgpr82
	s_andn2_saveexec_b32 s11, s11
	s_cbranch_execz .LBB2_656
	s_branch .LBB2_643
.LBB2_642:                              ;   in Loop: Header=BB2_504 Depth=2
	s_andn2_saveexec_b32 s11, s11
	s_cbranch_execz .LBB2_656
.LBB2_643:                              ;   in Loop: Header=BB2_504 Depth=2
	v_cmp_gt_i16_sdwa s24, v17, v119 src0_sel:BYTE_3 src1_sel:DWORD
	s_mov_b32 s23, 0
	s_and_saveexec_b32 s25, s24
	s_xor_b32 s24, exec_lo, s25
	s_cbranch_execz .LBB2_854
; %bb.644:                              ;   in Loop: Header=BB2_504 Depth=2
	v_cmp_eq_u16_sdwa s26, v17, v40 src0_sel:BYTE_3 src1_sel:DWORD
	s_mov_b32 s23, -1
	s_and_saveexec_b32 s25, s26
; %bb.645:                              ;   in Loop: Header=BB2_504 Depth=2
	s_xor_b32 s23, exec_lo, -1
; %bb.646:                              ;   in Loop: Header=BB2_504 Depth=2
	s_or_b32 exec_lo, exec_lo, s25
	s_and_b32 s23, s23, exec_lo
	s_or_saveexec_b32 s24, s24
	v_mov_b32_e32 v46, 0x7f800001
	s_xor_b32 exec_lo, exec_lo, s24
	s_cbranch_execnz .LBB2_855
.LBB2_647:                              ;   in Loop: Header=BB2_504 Depth=2
	s_or_b32 exec_lo, exec_lo, s24
	s_and_saveexec_b32 s24, s23
	s_cbranch_execz .LBB2_649
.LBB2_648:                              ;   in Loop: Header=BB2_504 Depth=2
	v_bfe_u32 v46, v17, 24, 2
	v_bfe_u32 v57, v17, 26, 5
	v_ffbh_u32_e32 v47, v46
	v_cmp_eq_u32_e32 vcc_lo, 0, v57
	v_min_u32_e32 v47, 32, v47
	v_subrev_nc_u32_e32 v56, 29, v47
	v_sub_nc_u32_e32 v47, 30, v47
	v_lshlrev_b32_sdwa v56, v56, v17 dst_sel:DWORD dst_unused:UNUSED_PAD src0_sel:DWORD src1_sel:BYTE_3
	v_cndmask_b32_e32 v47, v57, v47, vcc_lo
	v_and_b32_e32 v17, 0x80000000, v17
	v_and_b32_e32 v56, 3, v56
	v_lshl_add_u32 v47, v47, 23, 0x37800000
	v_cndmask_b32_e32 v46, v46, v56, vcc_lo
	v_lshlrev_b32_e32 v46, 21, v46
	v_or3_b32 v46, v17, v47, v46
.LBB2_649:                              ;   in Loop: Header=BB2_504 Depth=2
	s_or_b32 exec_lo, exec_lo, s24
	v_cmp_gt_i16_sdwa s24, v82, v119 src0_sel:BYTE_3 src1_sel:DWORD
	s_mov_b32 s23, 0
	s_and_saveexec_b32 s25, s24
	s_xor_b32 s24, exec_lo, s25
	s_cbranch_execz .LBB2_856
; %bb.650:                              ;   in Loop: Header=BB2_504 Depth=2
	v_cmp_eq_u16_sdwa s26, v82, v40 src0_sel:BYTE_3 src1_sel:DWORD
	s_mov_b32 s23, -1
	s_and_saveexec_b32 s25, s26
; %bb.651:                              ;   in Loop: Header=BB2_504 Depth=2
	s_xor_b32 s23, exec_lo, -1
; %bb.652:                              ;   in Loop: Header=BB2_504 Depth=2
	s_or_b32 exec_lo, exec_lo, s25
	s_and_b32 s23, s23, exec_lo
	s_or_saveexec_b32 s24, s24
	v_mov_b32_e32 v17, 0x7f800001
	s_xor_b32 exec_lo, exec_lo, s24
	s_cbranch_execnz .LBB2_857
.LBB2_653:                              ;   in Loop: Header=BB2_504 Depth=2
	s_or_b32 exec_lo, exec_lo, s24
	s_and_saveexec_b32 s24, s23
	s_cbranch_execz .LBB2_655
.LBB2_654:                              ;   in Loop: Header=BB2_504 Depth=2
	v_bfe_u32 v17, v82, 24, 2
	v_bfe_u32 v57, v82, 26, 5
	v_ffbh_u32_e32 v47, v17
	v_cmp_eq_u32_e32 vcc_lo, 0, v57
	v_min_u32_e32 v47, 32, v47
	v_subrev_nc_u32_e32 v56, 29, v47
	v_sub_nc_u32_e32 v47, 30, v47
	v_lshlrev_b32_sdwa v56, v56, v82 dst_sel:DWORD dst_unused:UNUSED_PAD src0_sel:DWORD src1_sel:BYTE_3
	v_cndmask_b32_e32 v47, v57, v47, vcc_lo
	v_and_b32_e32 v82, 0x80000000, v82
	v_and_b32_e32 v56, 3, v56
	v_lshl_add_u32 v47, v47, 23, 0x37800000
	v_cndmask_b32_e32 v17, v17, v56, vcc_lo
	v_lshlrev_b32_e32 v17, 21, v17
	v_or3_b32 v17, v82, v47, v17
.LBB2_655:                              ;   in Loop: Header=BB2_504 Depth=2
	s_or_b32 exec_lo, exec_lo, s24
	v_max_f32_e32 v17, v17, v17
	v_max_f32_e32 v82, v46, v46
	v_min_f32_e32 v46, v82, v17
.LBB2_656:                              ;   in Loop: Header=BB2_504 Depth=2
	s_or_b32 exec_lo, exec_lo, s11
	v_and_b32_e32 v17, 0x7f800000, v46
	v_cmp_ne_u32_e32 vcc_lo, 0x7f800000, v17
	v_mov_b32_e32 v17, 0x8000
	s_and_saveexec_b32 s23, vcc_lo
	s_cbranch_execz .LBB2_664
; %bb.657:                              ;   in Loop: Header=BB2_504 Depth=2
	v_mov_b32_e32 v17, 0
	s_mov_b32 s24, exec_lo
	v_cmpx_ne_u32_e32 0, v46
	s_cbranch_execz .LBB2_663
; %bb.658:                              ;   in Loop: Header=BB2_504 Depth=2
	v_bfe_u32 v17, v46, 23, 8
	v_and_b32_e32 v82, 0x7fffff, v46
	v_sub_nc_u32_e32 v47, 0x70, v17
	v_cmp_gt_u32_e32 vcc_lo, 0x71, v17
	v_or_b32_e32 v56, 0x800000, v82
	v_cndmask_b32_e32 v47, 0, v47, vcc_lo
	v_cmp_eq_u32_e32 vcc_lo, 0, v17
	v_add_nc_u32_e32 v17, 0xffffff91, v17
	v_cndmask_b32_e64 v47, v47, 0x6f, vcc_lo
	v_cndmask_b32_e32 v82, v56, v82, vcc_lo
	v_cndmask_b32_e64 v17, v17, 0xffffff92, vcc_lo
	v_lshl_add_u32 v56, 0x200000, v47, -1
	v_lshrrev_b32_e32 v57, v47, v82
	v_lshlrev_b32_e64 v59, v47, 0x100000
	v_add_nc_u32_e32 v47, v47, v17
	v_and_b32_e32 v82, v56, v82
	v_bfe_u32 v58, v57, 21, 1
	v_cmp_eq_u32_e64 s11, v82, v59
	v_add_nc_u32_e32 v56, -1, v58
	v_cndmask_b32_e64 v82, 0, v56, s11
	v_lshrrev_b32_e32 v56, 23, v57
	s_mov_b32 s11, exec_lo
	v_add_nc_u32_e32 v82, v82, v57
	v_xor_b32_e32 v56, 1, v56
	v_and_b32_e32 v17, 0x1fffff, v82
	v_add_nc_u32_e32 v82, v17, v57
                                        ; implicit-def: $vgpr17
	v_cmpx_ne_u32_e64 v47, v56
	s_xor_b32 s11, exec_lo, s11
; %bb.659:                              ;   in Loop: Header=BB2_504 Depth=2
	v_cmp_lt_u32_e32 vcc_lo, 0xffffff, v82
	v_sub_nc_u32_e32 v17, v47, v56
	v_cndmask_b32_e64 v47, 0, 1, vcc_lo
	v_add_co_ci_u32_e64 v17, null, 0, v17, vcc_lo
	v_lshrrev_b32_e32 v82, v47, v82
; %bb.660:                              ;   in Loop: Header=BB2_504 Depth=2
	s_andn2_saveexec_b32 s11, s11
; %bb.661:                              ;   in Loop: Header=BB2_504 Depth=2
	v_bfe_u32 v17, v82, 23, 1
; %bb.662:                              ;   in Loop: Header=BB2_504 Depth=2
	s_or_b32 exec_lo, exec_lo, s11
	v_lshrrev_b32_e32 v82, 21, v82
	v_min_i32_e32 v47, 31, v17
	v_cmp_gt_i32_e32 vcc_lo, 32, v17
	v_and_b32_sdwa v46, v46, v40 dst_sel:DWORD dst_unused:UNUSED_PAD src0_sel:BYTE_3 src1_sel:DWORD
	v_lshlrev_b32_e32 v47, 2, v47
	v_cndmask_b32_e32 v82, 3, v82, vcc_lo
	v_and_b32_e32 v47, 0xfc, v47
	v_and_b32_e32 v56, 3, v82
	v_or_b32_e32 v17, v17, v82
	v_or3_b32 v46, v46, v47, v56
	v_cmp_ne_u32_e32 vcc_lo, 0, v17
	v_lshlrev_b32_e32 v82, 8, v46
	v_cndmask_b32_e32 v17, 0, v82, vcc_lo
.LBB2_663:                              ;   in Loop: Header=BB2_504 Depth=2
	s_or_b32 exec_lo, exec_lo, s24
.LBB2_664:                              ;   in Loop: Header=BB2_504 Depth=2
	s_or_b32 exec_lo, exec_lo, s23
	v_alignbit_b32 v82, v96, v97, v20
                                        ; implicit-def: $vgpr20
	s_and_saveexec_b32 s11, s9
	s_xor_b32 s11, exec_lo, s11
	s_cbranch_execz .LBB2_678
; %bb.665:                              ;   in Loop: Header=BB2_504 Depth=2
	v_cmp_gt_i16_sdwa s24, v19, v119 src0_sel:BYTE_0 src1_sel:DWORD
	s_mov_b32 s23, 0
	s_and_saveexec_b32 s25, s24
	s_xor_b32 s24, exec_lo, s25
	s_cbranch_execz .LBB2_858
; %bb.666:                              ;   in Loop: Header=BB2_504 Depth=2
	v_cmp_eq_u16_sdwa s26, v19, v40 src0_sel:BYTE_0 src1_sel:DWORD
	s_mov_b32 s23, -1
	s_and_saveexec_b32 s25, s26
; %bb.667:                              ;   in Loop: Header=BB2_504 Depth=2
	s_xor_b32 s23, exec_lo, -1
; %bb.668:                              ;   in Loop: Header=BB2_504 Depth=2
	s_or_b32 exec_lo, exec_lo, s25
	s_and_b32 s23, s23, exec_lo
	s_or_saveexec_b32 s24, s24
	v_mov_b32_e32 v20, 0x7f800001
	s_xor_b32 exec_lo, exec_lo, s24
	s_cbranch_execnz .LBB2_859
.LBB2_669:                              ;   in Loop: Header=BB2_504 Depth=2
	s_or_b32 exec_lo, exec_lo, s24
	s_and_saveexec_b32 s24, s23
	s_cbranch_execz .LBB2_671
.LBB2_670:                              ;   in Loop: Header=BB2_504 Depth=2
	v_and_b32_e32 v20, 3, v19
	v_bfe_u32 v46, v19, 2, 5
	v_lshlrev_b32_e32 v47, 24, v19
	v_ffbh_u32_e32 v96, v20
	v_cmp_eq_u32_e32 vcc_lo, 0, v46
	v_min_u32_e32 v96, 32, v96
	v_subrev_nc_u32_e32 v97, 29, v96
	v_sub_nc_u32_e32 v96, 30, v96
	v_lshlrev_b32_e32 v97, v97, v19
	v_cndmask_b32_e32 v96, v46, v96, vcc_lo
	v_and_b32_e32 v97, 3, v97
	v_lshl_add_u32 v96, v96, 23, 0x37800000
	v_cndmask_b32_e32 v20, v20, v97, vcc_lo
	v_and_b32_e32 v97, 0x80000000, v47
	v_lshlrev_b32_e32 v20, 21, v20
	v_or3_b32 v20, v97, v96, v20
.LBB2_671:                              ;   in Loop: Header=BB2_504 Depth=2
	s_or_b32 exec_lo, exec_lo, s24
	v_cmp_gt_i16_sdwa s24, v82, v119 src0_sel:BYTE_0 src1_sel:DWORD
	s_mov_b32 s23, 0
	s_and_saveexec_b32 s25, s24
	s_xor_b32 s24, exec_lo, s25
	s_cbranch_execz .LBB2_860
; %bb.672:                              ;   in Loop: Header=BB2_504 Depth=2
	v_cmp_eq_u16_sdwa s26, v82, v40 src0_sel:BYTE_0 src1_sel:DWORD
	s_mov_b32 s23, -1
	s_and_saveexec_b32 s25, s26
; %bb.673:                              ;   in Loop: Header=BB2_504 Depth=2
	s_xor_b32 s23, exec_lo, -1
; %bb.674:                              ;   in Loop: Header=BB2_504 Depth=2
	s_or_b32 exec_lo, exec_lo, s25
	s_and_b32 s23, s23, exec_lo
	s_or_saveexec_b32 s24, s24
	v_mov_b32_e32 v96, 0x7f800001
	s_xor_b32 exec_lo, exec_lo, s24
	s_cbranch_execnz .LBB2_861
.LBB2_675:                              ;   in Loop: Header=BB2_504 Depth=2
	s_or_b32 exec_lo, exec_lo, s24
	s_and_saveexec_b32 s24, s23
	s_cbranch_execz .LBB2_677
.LBB2_676:                              ;   in Loop: Header=BB2_504 Depth=2
	v_and_b32_e32 v96, 3, v82
	v_bfe_u32 v47, v82, 2, 5
	v_lshlrev_b32_e32 v56, 24, v82
	v_ffbh_u32_e32 v97, v96
	v_cmp_eq_u32_e32 vcc_lo, 0, v47
	v_min_u32_e32 v97, 32, v97
	v_subrev_nc_u32_e32 v46, 29, v97
	v_sub_nc_u32_e32 v97, 30, v97
	v_lshlrev_b32_e32 v46, v46, v82
	v_cndmask_b32_e32 v97, v47, v97, vcc_lo
	v_and_b32_e32 v46, 3, v46
	v_lshl_add_u32 v97, v97, 23, 0x37800000
	v_cndmask_b32_e32 v96, v96, v46, vcc_lo
	v_and_b32_e32 v46, 0x80000000, v56
	v_lshlrev_b32_e32 v96, 21, v96
	v_or3_b32 v96, v46, v97, v96
.LBB2_677:                              ;   in Loop: Header=BB2_504 Depth=2
	s_or_b32 exec_lo, exec_lo, s24
	v_max_f32_e32 v96, v96, v96
	v_max_f32_e32 v20, v20, v20
	v_max_f32_e32 v20, v20, v96
.LBB2_678:                              ;   in Loop: Header=BB2_504 Depth=2
	s_andn2_saveexec_b32 s11, s11
	s_cbranch_execz .LBB2_692
; %bb.679:                              ;   in Loop: Header=BB2_504 Depth=2
	v_cmp_gt_i16_sdwa s24, v19, v119 src0_sel:BYTE_0 src1_sel:DWORD
	s_mov_b32 s23, 0
	s_and_saveexec_b32 s25, s24
	s_xor_b32 s24, exec_lo, s25
	s_cbranch_execz .LBB2_862
; %bb.680:                              ;   in Loop: Header=BB2_504 Depth=2
	v_cmp_eq_u16_sdwa s26, v19, v40 src0_sel:BYTE_0 src1_sel:DWORD
	s_mov_b32 s23, -1
	s_and_saveexec_b32 s25, s26
; %bb.681:                              ;   in Loop: Header=BB2_504 Depth=2
	s_xor_b32 s23, exec_lo, -1
; %bb.682:                              ;   in Loop: Header=BB2_504 Depth=2
	s_or_b32 exec_lo, exec_lo, s25
	s_and_b32 s23, s23, exec_lo
	s_or_saveexec_b32 s24, s24
	v_mov_b32_e32 v20, 0x7f800001
	s_xor_b32 exec_lo, exec_lo, s24
	s_cbranch_execnz .LBB2_863
.LBB2_683:                              ;   in Loop: Header=BB2_504 Depth=2
	s_or_b32 exec_lo, exec_lo, s24
	s_and_saveexec_b32 s24, s23
	s_cbranch_execz .LBB2_685
.LBB2_684:                              ;   in Loop: Header=BB2_504 Depth=2
	v_and_b32_e32 v20, 3, v19
	v_bfe_u32 v46, v19, 2, 5
	v_lshlrev_b32_e32 v47, 24, v19
	v_ffbh_u32_e32 v96, v20
	v_cmp_eq_u32_e32 vcc_lo, 0, v46
	v_min_u32_e32 v96, 32, v96
	v_subrev_nc_u32_e32 v97, 29, v96
	v_sub_nc_u32_e32 v96, 30, v96
	v_lshlrev_b32_e32 v97, v97, v19
	v_cndmask_b32_e32 v96, v46, v96, vcc_lo
	v_and_b32_e32 v97, 3, v97
	v_lshl_add_u32 v96, v96, 23, 0x37800000
	v_cndmask_b32_e32 v20, v20, v97, vcc_lo
	v_and_b32_e32 v97, 0x80000000, v47
	v_lshlrev_b32_e32 v20, 21, v20
	v_or3_b32 v20, v97, v96, v20
.LBB2_685:                              ;   in Loop: Header=BB2_504 Depth=2
	s_or_b32 exec_lo, exec_lo, s24
	v_cmp_gt_i16_sdwa s24, v82, v119 src0_sel:BYTE_0 src1_sel:DWORD
	s_mov_b32 s23, 0
	s_and_saveexec_b32 s25, s24
	s_xor_b32 s24, exec_lo, s25
	s_cbranch_execz .LBB2_864
; %bb.686:                              ;   in Loop: Header=BB2_504 Depth=2
	v_cmp_eq_u16_sdwa s26, v82, v40 src0_sel:BYTE_0 src1_sel:DWORD
	s_mov_b32 s23, -1
	s_and_saveexec_b32 s25, s26
; %bb.687:                              ;   in Loop: Header=BB2_504 Depth=2
	s_xor_b32 s23, exec_lo, -1
; %bb.688:                              ;   in Loop: Header=BB2_504 Depth=2
	s_or_b32 exec_lo, exec_lo, s25
	s_and_b32 s23, s23, exec_lo
	s_or_saveexec_b32 s24, s24
	v_mov_b32_e32 v96, 0x7f800001
	s_xor_b32 exec_lo, exec_lo, s24
	s_cbranch_execnz .LBB2_865
.LBB2_689:                              ;   in Loop: Header=BB2_504 Depth=2
	s_or_b32 exec_lo, exec_lo, s24
	s_and_saveexec_b32 s24, s23
	s_cbranch_execz .LBB2_691
.LBB2_690:                              ;   in Loop: Header=BB2_504 Depth=2
	v_and_b32_e32 v96, 3, v82
	v_bfe_u32 v47, v82, 2, 5
	v_lshlrev_b32_e32 v56, 24, v82
	v_ffbh_u32_e32 v97, v96
	v_cmp_eq_u32_e32 vcc_lo, 0, v47
	v_min_u32_e32 v97, 32, v97
	v_subrev_nc_u32_e32 v46, 29, v97
	v_sub_nc_u32_e32 v97, 30, v97
	v_lshlrev_b32_e32 v46, v46, v82
	v_cndmask_b32_e32 v97, v47, v97, vcc_lo
	v_and_b32_e32 v46, 3, v46
	v_lshl_add_u32 v97, v97, 23, 0x37800000
	v_cndmask_b32_e32 v96, v96, v46, vcc_lo
	v_and_b32_e32 v46, 0x80000000, v56
	v_lshlrev_b32_e32 v96, 21, v96
	v_or3_b32 v96, v46, v97, v96
.LBB2_691:                              ;   in Loop: Header=BB2_504 Depth=2
	s_or_b32 exec_lo, exec_lo, s24
	v_max_f32_e32 v96, v96, v96
	v_max_f32_e32 v20, v20, v20
	v_min_f32_e32 v20, v20, v96
.LBB2_692:                              ;   in Loop: Header=BB2_504 Depth=2
	s_or_b32 exec_lo, exec_lo, s11
	v_and_b32_e32 v96, 0x7f800000, v20
	v_cmp_ne_u32_e32 vcc_lo, 0x7f800000, v96
	v_mov_b32_e32 v96, 0x80
	s_and_saveexec_b32 s23, vcc_lo
	s_cbranch_execz .LBB2_700
; %bb.693:                              ;   in Loop: Header=BB2_504 Depth=2
	v_mov_b32_e32 v96, 0
	s_mov_b32 s24, exec_lo
	v_cmpx_ne_u32_e32 0, v20
	s_cbranch_execz .LBB2_699
; %bb.694:                              ;   in Loop: Header=BB2_504 Depth=2
	v_bfe_u32 v96, v20, 23, 8
	v_and_b32_e32 v97, 0x7fffff, v20
	v_sub_nc_u32_e32 v46, 0x70, v96
	v_cmp_gt_u32_e32 vcc_lo, 0x71, v96
	v_or_b32_e32 v47, 0x800000, v97
	v_cndmask_b32_e32 v46, 0, v46, vcc_lo
	v_cmp_eq_u32_e32 vcc_lo, 0, v96
	v_add_nc_u32_e32 v96, 0xffffff91, v96
	v_cndmask_b32_e64 v46, v46, 0x6f, vcc_lo
	v_cndmask_b32_e32 v97, v47, v97, vcc_lo
	v_cndmask_b32_e64 v96, v96, 0xffffff92, vcc_lo
	v_lshl_add_u32 v47, 0x200000, v46, -1
	v_lshrrev_b32_e32 v56, v46, v97
	v_lshlrev_b32_e64 v58, v46, 0x100000
	v_add_nc_u32_e32 v46, v46, v96
	v_and_b32_e32 v97, v47, v97
	v_bfe_u32 v57, v56, 21, 1
	v_cmp_eq_u32_e64 s11, v97, v58
	v_add_nc_u32_e32 v47, -1, v57
	v_cndmask_b32_e64 v97, 0, v47, s11
	v_lshrrev_b32_e32 v47, 23, v56
	s_mov_b32 s11, exec_lo
	v_add_nc_u32_e32 v97, v97, v56
	v_xor_b32_e32 v47, 1, v47
	v_and_b32_e32 v96, 0x1fffff, v97
	v_add_nc_u32_e32 v97, v96, v56
                                        ; implicit-def: $vgpr96
	v_cmpx_ne_u32_e64 v46, v47
	s_xor_b32 s11, exec_lo, s11
; %bb.695:                              ;   in Loop: Header=BB2_504 Depth=2
	v_cmp_lt_u32_e32 vcc_lo, 0xffffff, v97
	v_sub_nc_u32_e32 v96, v46, v47
	v_cndmask_b32_e64 v46, 0, 1, vcc_lo
	v_add_co_ci_u32_e64 v96, null, 0, v96, vcc_lo
	v_lshrrev_b32_e32 v97, v46, v97
; %bb.696:                              ;   in Loop: Header=BB2_504 Depth=2
	s_andn2_saveexec_b32 s11, s11
; %bb.697:                              ;   in Loop: Header=BB2_504 Depth=2
	v_bfe_u32 v96, v97, 23, 1
; %bb.698:                              ;   in Loop: Header=BB2_504 Depth=2
	s_or_b32 exec_lo, exec_lo, s11
	v_lshrrev_b32_e32 v97, 21, v97
	v_min_i32_e32 v46, 31, v96
	v_cmp_gt_i32_e32 vcc_lo, 32, v96
	v_and_b32_sdwa v20, v20, v40 dst_sel:DWORD dst_unused:UNUSED_PAD src0_sel:BYTE_3 src1_sel:DWORD
	v_lshlrev_b32_e32 v46, 2, v46
	v_cndmask_b32_e32 v97, 3, v97, vcc_lo
	v_and_b32_e32 v46, 0xfc, v46
	v_and_b32_e32 v47, 3, v97
	v_or_b32_e32 v96, v96, v97
	v_or3_b32 v20, v46, v20, v47
	v_cmp_ne_u32_e32 vcc_lo, 0, v96
	v_cndmask_b32_e32 v96, 0, v20, vcc_lo
.LBB2_699:                              ;   in Loop: Header=BB2_504 Depth=2
	s_or_b32 exec_lo, exec_lo, s24
.LBB2_700:                              ;   in Loop: Header=BB2_504 Depth=2
	s_or_b32 exec_lo, exec_lo, s23
                                        ; implicit-def: $vgpr20
	s_and_saveexec_b32 s11, s9
	s_xor_b32 s11, exec_lo, s11
	s_cbranch_execz .LBB2_714
; %bb.701:                              ;   in Loop: Header=BB2_504 Depth=2
	v_cmp_gt_i16_sdwa s24, v19, v119 src0_sel:BYTE_1 src1_sel:DWORD
	s_mov_b32 s23, 0
	s_and_saveexec_b32 s25, s24
	s_xor_b32 s24, exec_lo, s25
	s_cbranch_execz .LBB2_866
; %bb.702:                              ;   in Loop: Header=BB2_504 Depth=2
	v_cmp_eq_u16_sdwa s26, v19, v40 src0_sel:BYTE_1 src1_sel:DWORD
	s_mov_b32 s23, -1
	s_and_saveexec_b32 s25, s26
; %bb.703:                              ;   in Loop: Header=BB2_504 Depth=2
	s_xor_b32 s23, exec_lo, -1
; %bb.704:                              ;   in Loop: Header=BB2_504 Depth=2
	s_or_b32 exec_lo, exec_lo, s25
	s_and_b32 s23, s23, exec_lo
	s_or_saveexec_b32 s24, s24
	v_mov_b32_e32 v20, 0x7f800001
	s_xor_b32 exec_lo, exec_lo, s24
	s_cbranch_execnz .LBB2_867
.LBB2_705:                              ;   in Loop: Header=BB2_504 Depth=2
	s_or_b32 exec_lo, exec_lo, s24
	s_and_saveexec_b32 s24, s23
	s_cbranch_execz .LBB2_707
.LBB2_706:                              ;   in Loop: Header=BB2_504 Depth=2
	v_and_b32_sdwa v20, v41, v19 dst_sel:DWORD dst_unused:UNUSED_PAD src0_sel:DWORD src1_sel:BYTE_1
	v_and_b32_e32 v97, 3, v20
	v_bfe_u32 v56, v20, 2, 5
	v_ffbh_u32_e32 v46, v97
	v_cmp_eq_u32_e32 vcc_lo, 0, v56
	v_min_u32_e32 v46, 32, v46
	v_subrev_nc_u32_e32 v47, 29, v46
	v_sub_nc_u32_e32 v46, 30, v46
	v_lshlrev_b32_e32 v20, v47, v20
	v_lshlrev_b32_e32 v47, 16, v19
	v_cndmask_b32_e32 v46, v56, v46, vcc_lo
	v_and_b32_e32 v20, 3, v20
	v_lshl_add_u32 v46, v46, 23, 0x37800000
	v_cndmask_b32_e32 v20, v97, v20, vcc_lo
	v_and_b32_e32 v97, 0x80000000, v47
	v_lshlrev_b32_e32 v20, 21, v20
	v_or3_b32 v20, v97, v46, v20
.LBB2_707:                              ;   in Loop: Header=BB2_504 Depth=2
	s_or_b32 exec_lo, exec_lo, s24
	v_cmp_gt_i16_sdwa s24, v82, v119 src0_sel:BYTE_1 src1_sel:DWORD
	s_mov_b32 s23, 0
	s_and_saveexec_b32 s25, s24
	s_xor_b32 s24, exec_lo, s25
	s_cbranch_execz .LBB2_868
; %bb.708:                              ;   in Loop: Header=BB2_504 Depth=2
	v_cmp_eq_u16_sdwa s26, v82, v40 src0_sel:BYTE_1 src1_sel:DWORD
	s_mov_b32 s23, -1
	s_and_saveexec_b32 s25, s26
; %bb.709:                              ;   in Loop: Header=BB2_504 Depth=2
	s_xor_b32 s23, exec_lo, -1
; %bb.710:                              ;   in Loop: Header=BB2_504 Depth=2
	s_or_b32 exec_lo, exec_lo, s25
	s_and_b32 s23, s23, exec_lo
	s_or_saveexec_b32 s24, s24
	v_mov_b32_e32 v97, 0x7f800001
	s_xor_b32 exec_lo, exec_lo, s24
	s_cbranch_execnz .LBB2_869
.LBB2_711:                              ;   in Loop: Header=BB2_504 Depth=2
	s_or_b32 exec_lo, exec_lo, s24
	s_and_saveexec_b32 s24, s23
	s_cbranch_execz .LBB2_713
.LBB2_712:                              ;   in Loop: Header=BB2_504 Depth=2
	v_and_b32_sdwa v97, v41, v82 dst_sel:DWORD dst_unused:UNUSED_PAD src0_sel:DWORD src1_sel:BYTE_1
	v_and_b32_e32 v46, 3, v97
	v_bfe_u32 v57, v97, 2, 5
	v_ffbh_u32_e32 v47, v46
	v_cmp_eq_u32_e32 vcc_lo, 0, v57
	v_min_u32_e32 v47, 32, v47
	v_subrev_nc_u32_e32 v56, 29, v47
	v_sub_nc_u32_e32 v47, 30, v47
	v_lshlrev_b32_e32 v97, v56, v97
	v_lshlrev_b32_e32 v56, 16, v82
	v_cndmask_b32_e32 v47, v57, v47, vcc_lo
	v_and_b32_e32 v97, 3, v97
	v_lshl_add_u32 v47, v47, 23, 0x37800000
	v_cndmask_b32_e32 v97, v46, v97, vcc_lo
	v_and_b32_e32 v46, 0x80000000, v56
	v_lshlrev_b32_e32 v97, 21, v97
	v_or3_b32 v97, v46, v47, v97
.LBB2_713:                              ;   in Loop: Header=BB2_504 Depth=2
	s_or_b32 exec_lo, exec_lo, s24
	v_max_f32_e32 v97, v97, v97
	v_max_f32_e32 v20, v20, v20
	;; [unrolled: 1-line block ×3, first 2 shown]
	s_andn2_saveexec_b32 s11, s11
	s_cbranch_execz .LBB2_728
	s_branch .LBB2_715
.LBB2_714:                              ;   in Loop: Header=BB2_504 Depth=2
	s_andn2_saveexec_b32 s11, s11
	s_cbranch_execz .LBB2_728
.LBB2_715:                              ;   in Loop: Header=BB2_504 Depth=2
	v_cmp_gt_i16_sdwa s24, v19, v119 src0_sel:BYTE_1 src1_sel:DWORD
	s_mov_b32 s23, 0
	s_and_saveexec_b32 s25, s24
	s_xor_b32 s24, exec_lo, s25
	s_cbranch_execz .LBB2_870
; %bb.716:                              ;   in Loop: Header=BB2_504 Depth=2
	v_cmp_eq_u16_sdwa s26, v19, v40 src0_sel:BYTE_1 src1_sel:DWORD
	s_mov_b32 s23, -1
	s_and_saveexec_b32 s25, s26
; %bb.717:                              ;   in Loop: Header=BB2_504 Depth=2
	s_xor_b32 s23, exec_lo, -1
; %bb.718:                              ;   in Loop: Header=BB2_504 Depth=2
	s_or_b32 exec_lo, exec_lo, s25
	s_and_b32 s23, s23, exec_lo
	s_or_saveexec_b32 s24, s24
	v_mov_b32_e32 v20, 0x7f800001
	s_xor_b32 exec_lo, exec_lo, s24
	s_cbranch_execnz .LBB2_871
.LBB2_719:                              ;   in Loop: Header=BB2_504 Depth=2
	s_or_b32 exec_lo, exec_lo, s24
	s_and_saveexec_b32 s24, s23
	s_cbranch_execz .LBB2_721
.LBB2_720:                              ;   in Loop: Header=BB2_504 Depth=2
	v_and_b32_sdwa v20, v41, v19 dst_sel:DWORD dst_unused:UNUSED_PAD src0_sel:DWORD src1_sel:BYTE_1
	v_and_b32_e32 v97, 3, v20
	v_bfe_u32 v56, v20, 2, 5
	v_ffbh_u32_e32 v46, v97
	v_cmp_eq_u32_e32 vcc_lo, 0, v56
	v_min_u32_e32 v46, 32, v46
	v_subrev_nc_u32_e32 v47, 29, v46
	v_sub_nc_u32_e32 v46, 30, v46
	v_lshlrev_b32_e32 v20, v47, v20
	v_lshlrev_b32_e32 v47, 16, v19
	v_cndmask_b32_e32 v46, v56, v46, vcc_lo
	v_and_b32_e32 v20, 3, v20
	v_lshl_add_u32 v46, v46, 23, 0x37800000
	v_cndmask_b32_e32 v20, v97, v20, vcc_lo
	v_and_b32_e32 v97, 0x80000000, v47
	v_lshlrev_b32_e32 v20, 21, v20
	v_or3_b32 v20, v97, v46, v20
.LBB2_721:                              ;   in Loop: Header=BB2_504 Depth=2
	s_or_b32 exec_lo, exec_lo, s24
	v_cmp_gt_i16_sdwa s24, v82, v119 src0_sel:BYTE_1 src1_sel:DWORD
	s_mov_b32 s23, 0
	s_and_saveexec_b32 s25, s24
	s_xor_b32 s24, exec_lo, s25
	s_cbranch_execz .LBB2_872
; %bb.722:                              ;   in Loop: Header=BB2_504 Depth=2
	v_cmp_eq_u16_sdwa s26, v82, v40 src0_sel:BYTE_1 src1_sel:DWORD
	s_mov_b32 s23, -1
	s_and_saveexec_b32 s25, s26
; %bb.723:                              ;   in Loop: Header=BB2_504 Depth=2
	s_xor_b32 s23, exec_lo, -1
; %bb.724:                              ;   in Loop: Header=BB2_504 Depth=2
	s_or_b32 exec_lo, exec_lo, s25
	s_and_b32 s23, s23, exec_lo
	s_or_saveexec_b32 s24, s24
	v_mov_b32_e32 v97, 0x7f800001
	s_xor_b32 exec_lo, exec_lo, s24
	s_cbranch_execnz .LBB2_873
.LBB2_725:                              ;   in Loop: Header=BB2_504 Depth=2
	s_or_b32 exec_lo, exec_lo, s24
	s_and_saveexec_b32 s24, s23
	s_cbranch_execz .LBB2_727
.LBB2_726:                              ;   in Loop: Header=BB2_504 Depth=2
	v_and_b32_sdwa v97, v41, v82 dst_sel:DWORD dst_unused:UNUSED_PAD src0_sel:DWORD src1_sel:BYTE_1
	v_and_b32_e32 v46, 3, v97
	v_bfe_u32 v57, v97, 2, 5
	v_ffbh_u32_e32 v47, v46
	v_cmp_eq_u32_e32 vcc_lo, 0, v57
	v_min_u32_e32 v47, 32, v47
	v_subrev_nc_u32_e32 v56, 29, v47
	v_sub_nc_u32_e32 v47, 30, v47
	v_lshlrev_b32_e32 v97, v56, v97
	v_lshlrev_b32_e32 v56, 16, v82
	v_cndmask_b32_e32 v47, v57, v47, vcc_lo
	v_and_b32_e32 v97, 3, v97
	v_lshl_add_u32 v47, v47, 23, 0x37800000
	v_cndmask_b32_e32 v97, v46, v97, vcc_lo
	v_and_b32_e32 v46, 0x80000000, v56
	v_lshlrev_b32_e32 v97, 21, v97
	v_or3_b32 v97, v46, v47, v97
.LBB2_727:                              ;   in Loop: Header=BB2_504 Depth=2
	s_or_b32 exec_lo, exec_lo, s24
	v_max_f32_e32 v97, v97, v97
	v_max_f32_e32 v20, v20, v20
	v_min_f32_e32 v20, v20, v97
.LBB2_728:                              ;   in Loop: Header=BB2_504 Depth=2
	s_or_b32 exec_lo, exec_lo, s11
	v_and_b32_e32 v97, 0x7f800000, v20
	v_cmp_ne_u32_e32 vcc_lo, 0x7f800000, v97
	v_mov_b32_e32 v97, 0x8000
	s_and_saveexec_b32 s23, vcc_lo
	s_cbranch_execz .LBB2_736
; %bb.729:                              ;   in Loop: Header=BB2_504 Depth=2
	v_mov_b32_e32 v97, 0
	s_mov_b32 s24, exec_lo
	v_cmpx_ne_u32_e32 0, v20
	s_cbranch_execz .LBB2_735
; %bb.730:                              ;   in Loop: Header=BB2_504 Depth=2
	v_bfe_u32 v97, v20, 23, 8
	v_and_b32_e32 v46, 0x7fffff, v20
	v_sub_nc_u32_e32 v47, 0x70, v97
	v_cmp_gt_u32_e32 vcc_lo, 0x71, v97
	v_or_b32_e32 v56, 0x800000, v46
	v_cndmask_b32_e32 v47, 0, v47, vcc_lo
	v_cmp_eq_u32_e32 vcc_lo, 0, v97
	v_add_nc_u32_e32 v97, 0xffffff91, v97
	v_cndmask_b32_e64 v47, v47, 0x6f, vcc_lo
	v_cndmask_b32_e32 v46, v56, v46, vcc_lo
	v_cndmask_b32_e64 v97, v97, 0xffffff92, vcc_lo
	v_lshl_add_u32 v56, 0x200000, v47, -1
	v_lshrrev_b32_e32 v57, v47, v46
	v_lshlrev_b32_e64 v59, v47, 0x100000
	v_add_nc_u32_e32 v47, v47, v97
	v_and_b32_e32 v46, v56, v46
	v_bfe_u32 v58, v57, 21, 1
	v_cmp_eq_u32_e64 s11, v46, v59
	v_add_nc_u32_e32 v56, -1, v58
	v_cndmask_b32_e64 v46, 0, v56, s11
	v_lshrrev_b32_e32 v56, 23, v57
	s_mov_b32 s11, exec_lo
	v_add_nc_u32_e32 v46, v46, v57
	v_xor_b32_e32 v56, 1, v56
	v_and_b32_e32 v97, 0x1fffff, v46
	v_add_nc_u32_e32 v46, v97, v57
                                        ; implicit-def: $vgpr97
	v_cmpx_ne_u32_e64 v47, v56
	s_xor_b32 s11, exec_lo, s11
; %bb.731:                              ;   in Loop: Header=BB2_504 Depth=2
	v_cmp_lt_u32_e32 vcc_lo, 0xffffff, v46
	v_sub_nc_u32_e32 v97, v47, v56
	v_cndmask_b32_e64 v47, 0, 1, vcc_lo
	v_add_co_ci_u32_e64 v97, null, 0, v97, vcc_lo
	v_lshrrev_b32_e32 v46, v47, v46
; %bb.732:                              ;   in Loop: Header=BB2_504 Depth=2
	s_andn2_saveexec_b32 s11, s11
; %bb.733:                              ;   in Loop: Header=BB2_504 Depth=2
	v_bfe_u32 v97, v46, 23, 1
; %bb.734:                              ;   in Loop: Header=BB2_504 Depth=2
	s_or_b32 exec_lo, exec_lo, s11
	v_lshrrev_b32_e32 v46, 21, v46
	v_min_i32_e32 v47, 31, v97
	v_cmp_gt_i32_e32 vcc_lo, 32, v97
	v_and_b32_sdwa v20, v20, v40 dst_sel:DWORD dst_unused:UNUSED_PAD src0_sel:BYTE_3 src1_sel:DWORD
	v_lshlrev_b32_e32 v47, 2, v47
	v_cndmask_b32_e32 v46, 3, v46, vcc_lo
	v_and_b32_e32 v47, 0xfc, v47
	v_and_b32_e32 v56, 3, v46
	v_or_b32_e32 v97, v97, v46
	v_or3_b32 v20, v20, v47, v56
	v_cmp_ne_u32_e32 vcc_lo, 0, v97
	v_lshlrev_b32_e32 v20, 8, v20
	v_cndmask_b32_e32 v97, 0, v20, vcc_lo
.LBB2_735:                              ;   in Loop: Header=BB2_504 Depth=2
	s_or_b32 exec_lo, exec_lo, s24
.LBB2_736:                              ;   in Loop: Header=BB2_504 Depth=2
	s_or_b32 exec_lo, exec_lo, s23
                                        ; implicit-def: $vgpr20
	s_and_saveexec_b32 s11, s9
	s_xor_b32 s11, exec_lo, s11
	s_cbranch_execz .LBB2_750
; %bb.737:                              ;   in Loop: Header=BB2_504 Depth=2
	v_and_b32_sdwa v46, v19, v42 dst_sel:DWORD dst_unused:UNUSED_PAD src0_sel:WORD_1 src1_sel:DWORD
	s_mov_b32 s23, 0
	s_mov_b32 s24, exec_lo
	v_cmpx_lt_i16_e32 0x7f, v46
	s_xor_b32 s24, exec_lo, s24
	s_cbranch_execz .LBB2_874
; %bb.738:                              ;   in Loop: Header=BB2_504 Depth=2
	s_mov_b32 s23, -1
	s_mov_b32 s25, exec_lo
	v_cmpx_eq_u16_e32 0x80, v46
; %bb.739:                              ;   in Loop: Header=BB2_504 Depth=2
	s_xor_b32 s23, exec_lo, -1
; %bb.740:                              ;   in Loop: Header=BB2_504 Depth=2
	s_or_b32 exec_lo, exec_lo, s25
	s_and_b32 s23, s23, exec_lo
                                        ; implicit-def: $vgpr46
	s_or_saveexec_b32 s24, s24
	v_mov_b32_e32 v20, 0x7f800001
	s_xor_b32 exec_lo, exec_lo, s24
	s_cbranch_execnz .LBB2_875
.LBB2_741:                              ;   in Loop: Header=BB2_504 Depth=2
	s_or_b32 exec_lo, exec_lo, s24
	s_and_saveexec_b32 s24, s23
	s_cbranch_execz .LBB2_743
.LBB2_742:                              ;   in Loop: Header=BB2_504 Depth=2
	v_bfe_u32 v20, v19, 16, 2
	v_bfe_u32 v56, v19, 18, 5
	v_lshlrev_b32_sdwa v57, v43, v19 dst_sel:DWORD dst_unused:UNUSED_PAD src0_sel:DWORD src1_sel:WORD_1
	v_ffbh_u32_e32 v46, v20
	v_cmp_eq_u32_e32 vcc_lo, 0, v56
	v_min_u32_e32 v46, 32, v46
	v_subrev_nc_u32_e32 v47, 29, v46
	v_sub_nc_u32_e32 v46, 30, v46
	v_lshlrev_b32_sdwa v47, v47, v19 dst_sel:DWORD dst_unused:UNUSED_PAD src0_sel:DWORD src1_sel:WORD_1
	v_cndmask_b32_e32 v46, v56, v46, vcc_lo
	v_and_b32_e32 v47, 3, v47
	v_lshl_add_u32 v46, v46, 23, 0x37800000
	v_cndmask_b32_e32 v20, v20, v47, vcc_lo
	v_and_b32_e32 v47, 0x80000000, v57
	v_lshlrev_b32_e32 v20, 21, v20
	v_or3_b32 v20, v47, v46, v20
.LBB2_743:                              ;   in Loop: Header=BB2_504 Depth=2
	s_or_b32 exec_lo, exec_lo, s24
	v_and_b32_sdwa v47, v82, v42 dst_sel:DWORD dst_unused:UNUSED_PAD src0_sel:WORD_1 src1_sel:DWORD
	s_mov_b32 s23, 0
	s_mov_b32 s24, exec_lo
	v_cmpx_lt_i16_e32 0x7f, v47
	s_xor_b32 s24, exec_lo, s24
	s_cbranch_execz .LBB2_876
; %bb.744:                              ;   in Loop: Header=BB2_504 Depth=2
	s_mov_b32 s23, -1
	s_mov_b32 s25, exec_lo
	v_cmpx_eq_u16_e32 0x80, v47
; %bb.745:                              ;   in Loop: Header=BB2_504 Depth=2
	s_xor_b32 s23, exec_lo, -1
; %bb.746:                              ;   in Loop: Header=BB2_504 Depth=2
	s_or_b32 exec_lo, exec_lo, s25
	s_and_b32 s23, s23, exec_lo
                                        ; implicit-def: $vgpr47
	s_or_saveexec_b32 s24, s24
	v_mov_b32_e32 v46, 0x7f800001
	s_xor_b32 exec_lo, exec_lo, s24
	s_cbranch_execnz .LBB2_877
.LBB2_747:                              ;   in Loop: Header=BB2_504 Depth=2
	s_or_b32 exec_lo, exec_lo, s24
	s_and_saveexec_b32 s24, s23
	s_cbranch_execz .LBB2_749
.LBB2_748:                              ;   in Loop: Header=BB2_504 Depth=2
	v_bfe_u32 v46, v82, 16, 2
	v_bfe_u32 v57, v82, 18, 5
	v_lshlrev_b32_sdwa v58, v43, v82 dst_sel:DWORD dst_unused:UNUSED_PAD src0_sel:DWORD src1_sel:WORD_1
	v_ffbh_u32_e32 v47, v46
	v_cmp_eq_u32_e32 vcc_lo, 0, v57
	v_min_u32_e32 v47, 32, v47
	v_subrev_nc_u32_e32 v56, 29, v47
	v_sub_nc_u32_e32 v47, 30, v47
	v_lshlrev_b32_sdwa v56, v56, v82 dst_sel:DWORD dst_unused:UNUSED_PAD src0_sel:DWORD src1_sel:WORD_1
	v_cndmask_b32_e32 v47, v57, v47, vcc_lo
	v_and_b32_e32 v56, 3, v56
	v_lshl_add_u32 v47, v47, 23, 0x37800000
	v_cndmask_b32_e32 v46, v46, v56, vcc_lo
	v_and_b32_e32 v56, 0x80000000, v58
	v_lshlrev_b32_e32 v46, 21, v46
	v_or3_b32 v46, v56, v47, v46
.LBB2_749:                              ;   in Loop: Header=BB2_504 Depth=2
	s_or_b32 exec_lo, exec_lo, s24
	v_max_f32_e32 v46, v46, v46
	v_max_f32_e32 v20, v20, v20
	v_max_f32_e32 v20, v20, v46
	s_andn2_saveexec_b32 s11, s11
	s_cbranch_execz .LBB2_764
	s_branch .LBB2_751
.LBB2_750:                              ;   in Loop: Header=BB2_504 Depth=2
	s_andn2_saveexec_b32 s11, s11
	s_cbranch_execz .LBB2_764
.LBB2_751:                              ;   in Loop: Header=BB2_504 Depth=2
	v_and_b32_sdwa v46, v19, v42 dst_sel:DWORD dst_unused:UNUSED_PAD src0_sel:WORD_1 src1_sel:DWORD
	s_mov_b32 s23, 0
	s_mov_b32 s24, exec_lo
	v_cmpx_lt_i16_e32 0x7f, v46
	s_xor_b32 s24, exec_lo, s24
	s_cbranch_execz .LBB2_878
; %bb.752:                              ;   in Loop: Header=BB2_504 Depth=2
	s_mov_b32 s23, -1
	s_mov_b32 s25, exec_lo
	v_cmpx_eq_u16_e32 0x80, v46
; %bb.753:                              ;   in Loop: Header=BB2_504 Depth=2
	s_xor_b32 s23, exec_lo, -1
; %bb.754:                              ;   in Loop: Header=BB2_504 Depth=2
	s_or_b32 exec_lo, exec_lo, s25
	s_and_b32 s23, s23, exec_lo
                                        ; implicit-def: $vgpr46
	s_or_saveexec_b32 s24, s24
	v_mov_b32_e32 v20, 0x7f800001
	s_xor_b32 exec_lo, exec_lo, s24
	s_cbranch_execnz .LBB2_879
.LBB2_755:                              ;   in Loop: Header=BB2_504 Depth=2
	s_or_b32 exec_lo, exec_lo, s24
	s_and_saveexec_b32 s24, s23
	s_cbranch_execz .LBB2_757
.LBB2_756:                              ;   in Loop: Header=BB2_504 Depth=2
	v_bfe_u32 v20, v19, 16, 2
	v_bfe_u32 v56, v19, 18, 5
	v_lshlrev_b32_sdwa v57, v43, v19 dst_sel:DWORD dst_unused:UNUSED_PAD src0_sel:DWORD src1_sel:WORD_1
	v_ffbh_u32_e32 v46, v20
	v_cmp_eq_u32_e32 vcc_lo, 0, v56
	v_min_u32_e32 v46, 32, v46
	v_subrev_nc_u32_e32 v47, 29, v46
	v_sub_nc_u32_e32 v46, 30, v46
	v_lshlrev_b32_sdwa v47, v47, v19 dst_sel:DWORD dst_unused:UNUSED_PAD src0_sel:DWORD src1_sel:WORD_1
	v_cndmask_b32_e32 v46, v56, v46, vcc_lo
	v_and_b32_e32 v47, 3, v47
	v_lshl_add_u32 v46, v46, 23, 0x37800000
	v_cndmask_b32_e32 v20, v20, v47, vcc_lo
	v_and_b32_e32 v47, 0x80000000, v57
	v_lshlrev_b32_e32 v20, 21, v20
	v_or3_b32 v20, v47, v46, v20
.LBB2_757:                              ;   in Loop: Header=BB2_504 Depth=2
	s_or_b32 exec_lo, exec_lo, s24
	v_and_b32_sdwa v47, v82, v42 dst_sel:DWORD dst_unused:UNUSED_PAD src0_sel:WORD_1 src1_sel:DWORD
	s_mov_b32 s23, 0
	s_mov_b32 s24, exec_lo
	v_cmpx_lt_i16_e32 0x7f, v47
	s_xor_b32 s24, exec_lo, s24
	s_cbranch_execz .LBB2_880
; %bb.758:                              ;   in Loop: Header=BB2_504 Depth=2
	s_mov_b32 s23, -1
	s_mov_b32 s25, exec_lo
	v_cmpx_eq_u16_e32 0x80, v47
; %bb.759:                              ;   in Loop: Header=BB2_504 Depth=2
	s_xor_b32 s23, exec_lo, -1
; %bb.760:                              ;   in Loop: Header=BB2_504 Depth=2
	s_or_b32 exec_lo, exec_lo, s25
	s_and_b32 s23, s23, exec_lo
                                        ; implicit-def: $vgpr47
	s_or_saveexec_b32 s24, s24
	v_mov_b32_e32 v46, 0x7f800001
	s_xor_b32 exec_lo, exec_lo, s24
	s_cbranch_execnz .LBB2_881
.LBB2_761:                              ;   in Loop: Header=BB2_504 Depth=2
	s_or_b32 exec_lo, exec_lo, s24
	s_and_saveexec_b32 s24, s23
	s_cbranch_execz .LBB2_763
.LBB2_762:                              ;   in Loop: Header=BB2_504 Depth=2
	v_bfe_u32 v46, v82, 16, 2
	v_bfe_u32 v57, v82, 18, 5
	v_lshlrev_b32_sdwa v58, v43, v82 dst_sel:DWORD dst_unused:UNUSED_PAD src0_sel:DWORD src1_sel:WORD_1
	v_ffbh_u32_e32 v47, v46
	v_cmp_eq_u32_e32 vcc_lo, 0, v57
	v_min_u32_e32 v47, 32, v47
	v_subrev_nc_u32_e32 v56, 29, v47
	v_sub_nc_u32_e32 v47, 30, v47
	v_lshlrev_b32_sdwa v56, v56, v82 dst_sel:DWORD dst_unused:UNUSED_PAD src0_sel:DWORD src1_sel:WORD_1
	v_cndmask_b32_e32 v47, v57, v47, vcc_lo
	v_and_b32_e32 v56, 3, v56
	v_lshl_add_u32 v47, v47, 23, 0x37800000
	v_cndmask_b32_e32 v46, v46, v56, vcc_lo
	v_and_b32_e32 v56, 0x80000000, v58
	v_lshlrev_b32_e32 v46, 21, v46
	v_or3_b32 v46, v56, v47, v46
.LBB2_763:                              ;   in Loop: Header=BB2_504 Depth=2
	s_or_b32 exec_lo, exec_lo, s24
	v_max_f32_e32 v46, v46, v46
	v_max_f32_e32 v20, v20, v20
	v_min_f32_e32 v20, v20, v46
.LBB2_764:                              ;   in Loop: Header=BB2_504 Depth=2
	s_or_b32 exec_lo, exec_lo, s11
	v_and_b32_e32 v46, 0x7f800000, v20
	v_cmp_ne_u32_e32 vcc_lo, 0x7f800000, v46
	v_mov_b32_e32 v46, 0x80
	s_and_saveexec_b32 s23, vcc_lo
	s_cbranch_execz .LBB2_772
; %bb.765:                              ;   in Loop: Header=BB2_504 Depth=2
	v_mov_b32_e32 v46, 0
	s_mov_b32 s24, exec_lo
	v_cmpx_ne_u32_e32 0, v20
	s_cbranch_execz .LBB2_771
; %bb.766:                              ;   in Loop: Header=BB2_504 Depth=2
	v_bfe_u32 v46, v20, 23, 8
	v_and_b32_e32 v47, 0x7fffff, v20
	v_sub_nc_u32_e32 v56, 0x70, v46
	v_cmp_gt_u32_e32 vcc_lo, 0x71, v46
	v_or_b32_e32 v57, 0x800000, v47
	v_cndmask_b32_e32 v56, 0, v56, vcc_lo
	v_cmp_eq_u32_e32 vcc_lo, 0, v46
	v_add_nc_u32_e32 v46, 0xffffff91, v46
	v_cndmask_b32_e64 v56, v56, 0x6f, vcc_lo
	v_cndmask_b32_e32 v47, v57, v47, vcc_lo
	v_cndmask_b32_e64 v46, v46, 0xffffff92, vcc_lo
	v_lshl_add_u32 v57, 0x200000, v56, -1
	v_lshrrev_b32_e32 v58, v56, v47
	v_lshlrev_b32_e64 v60, v56, 0x100000
	v_add_nc_u32_e32 v56, v56, v46
	v_and_b32_e32 v47, v57, v47
	v_bfe_u32 v59, v58, 21, 1
	v_cmp_eq_u32_e64 s11, v47, v60
	v_add_nc_u32_e32 v57, -1, v59
	v_cndmask_b32_e64 v47, 0, v57, s11
	v_lshrrev_b32_e32 v57, 23, v58
	s_mov_b32 s11, exec_lo
	v_add_nc_u32_e32 v47, v47, v58
	v_xor_b32_e32 v57, 1, v57
	v_and_b32_e32 v46, 0x1fffff, v47
	v_add_nc_u32_e32 v47, v46, v58
                                        ; implicit-def: $vgpr46
	v_cmpx_ne_u32_e64 v56, v57
	s_xor_b32 s11, exec_lo, s11
; %bb.767:                              ;   in Loop: Header=BB2_504 Depth=2
	v_cmp_lt_u32_e32 vcc_lo, 0xffffff, v47
	v_sub_nc_u32_e32 v46, v56, v57
	v_cndmask_b32_e64 v56, 0, 1, vcc_lo
	v_add_co_ci_u32_e64 v46, null, 0, v46, vcc_lo
	v_lshrrev_b32_e32 v47, v56, v47
; %bb.768:                              ;   in Loop: Header=BB2_504 Depth=2
	s_andn2_saveexec_b32 s11, s11
; %bb.769:                              ;   in Loop: Header=BB2_504 Depth=2
	v_bfe_u32 v46, v47, 23, 1
; %bb.770:                              ;   in Loop: Header=BB2_504 Depth=2
	s_or_b32 exec_lo, exec_lo, s11
	v_lshrrev_b32_e32 v47, 21, v47
	v_min_i32_e32 v56, 31, v46
	v_cmp_gt_i32_e32 vcc_lo, 32, v46
	v_and_b32_sdwa v20, v20, v40 dst_sel:DWORD dst_unused:UNUSED_PAD src0_sel:BYTE_3 src1_sel:DWORD
	v_lshlrev_b32_e32 v56, 2, v56
	v_cndmask_b32_e32 v47, 3, v47, vcc_lo
	v_and_b32_e32 v56, 0xfc, v56
	v_and_b32_e32 v57, 3, v47
	v_or_b32_e32 v46, v46, v47
	v_or3_b32 v20, v56, v20, v57
	v_cmp_ne_u32_e32 vcc_lo, 0, v46
	v_cndmask_b32_e32 v46, 0, v20, vcc_lo
.LBB2_771:                              ;   in Loop: Header=BB2_504 Depth=2
	s_or_b32 exec_lo, exec_lo, s24
.LBB2_772:                              ;   in Loop: Header=BB2_504 Depth=2
	s_or_b32 exec_lo, exec_lo, s23
                                        ; implicit-def: $vgpr47
	s_and_saveexec_b32 s11, s9
	s_xor_b32 s11, exec_lo, s11
	s_cbranch_execz .LBB2_786
; %bb.773:                              ;   in Loop: Header=BB2_504 Depth=2
	v_cmp_gt_i16_sdwa s24, v19, v119 src0_sel:BYTE_3 src1_sel:DWORD
	s_mov_b32 s23, 0
	s_and_saveexec_b32 s25, s24
	s_xor_b32 s24, exec_lo, s25
	s_cbranch_execz .LBB2_882
; %bb.774:                              ;   in Loop: Header=BB2_504 Depth=2
	v_cmp_eq_u16_sdwa s26, v19, v40 src0_sel:BYTE_3 src1_sel:DWORD
	s_mov_b32 s23, -1
	s_and_saveexec_b32 s25, s26
; %bb.775:                              ;   in Loop: Header=BB2_504 Depth=2
	s_xor_b32 s23, exec_lo, -1
; %bb.776:                              ;   in Loop: Header=BB2_504 Depth=2
	s_or_b32 exec_lo, exec_lo, s25
	s_and_b32 s23, s23, exec_lo
	s_or_saveexec_b32 s24, s24
	v_mov_b32_e32 v20, 0x7f800001
	s_xor_b32 exec_lo, exec_lo, s24
	s_cbranch_execnz .LBB2_883
.LBB2_777:                              ;   in Loop: Header=BB2_504 Depth=2
	s_or_b32 exec_lo, exec_lo, s24
	s_and_saveexec_b32 s24, s23
	s_cbranch_execz .LBB2_779
.LBB2_778:                              ;   in Loop: Header=BB2_504 Depth=2
	v_bfe_u32 v20, v19, 24, 2
	v_bfe_u32 v57, v19, 26, 5
	v_ffbh_u32_e32 v47, v20
	v_cmp_eq_u32_e32 vcc_lo, 0, v57
	v_min_u32_e32 v47, 32, v47
	v_subrev_nc_u32_e32 v56, 29, v47
	v_sub_nc_u32_e32 v47, 30, v47
	v_lshlrev_b32_sdwa v56, v56, v19 dst_sel:DWORD dst_unused:UNUSED_PAD src0_sel:DWORD src1_sel:BYTE_3
	v_cndmask_b32_e32 v47, v57, v47, vcc_lo
	v_and_b32_e32 v19, 0x80000000, v19
	v_and_b32_e32 v56, 3, v56
	v_lshl_add_u32 v47, v47, 23, 0x37800000
	v_cndmask_b32_e32 v20, v20, v56, vcc_lo
	v_lshlrev_b32_e32 v20, 21, v20
	v_or3_b32 v20, v19, v47, v20
.LBB2_779:                              ;   in Loop: Header=BB2_504 Depth=2
	s_or_b32 exec_lo, exec_lo, s24
	v_cmp_gt_i16_sdwa s24, v82, v119 src0_sel:BYTE_3 src1_sel:DWORD
	s_mov_b32 s23, 0
	s_and_saveexec_b32 s25, s24
	s_xor_b32 s24, exec_lo, s25
	s_cbranch_execz .LBB2_884
; %bb.780:                              ;   in Loop: Header=BB2_504 Depth=2
	v_cmp_eq_u16_sdwa s26, v82, v40 src0_sel:BYTE_3 src1_sel:DWORD
	s_mov_b32 s23, -1
	s_and_saveexec_b32 s25, s26
; %bb.781:                              ;   in Loop: Header=BB2_504 Depth=2
	s_xor_b32 s23, exec_lo, -1
; %bb.782:                              ;   in Loop: Header=BB2_504 Depth=2
	s_or_b32 exec_lo, exec_lo, s25
	s_and_b32 s23, s23, exec_lo
	s_or_saveexec_b32 s24, s24
	v_mov_b32_e32 v19, 0x7f800001
	s_xor_b32 exec_lo, exec_lo, s24
	s_cbranch_execnz .LBB2_885
.LBB2_783:                              ;   in Loop: Header=BB2_504 Depth=2
	s_or_b32 exec_lo, exec_lo, s24
	s_and_saveexec_b32 s24, s23
	s_cbranch_execz .LBB2_785
.LBB2_784:                              ;   in Loop: Header=BB2_504 Depth=2
	v_bfe_u32 v19, v82, 24, 2
	v_bfe_u32 v57, v82, 26, 5
	v_ffbh_u32_e32 v47, v19
	v_cmp_eq_u32_e32 vcc_lo, 0, v57
	v_min_u32_e32 v47, 32, v47
	v_subrev_nc_u32_e32 v56, 29, v47
	v_sub_nc_u32_e32 v47, 30, v47
	v_lshlrev_b32_sdwa v56, v56, v82 dst_sel:DWORD dst_unused:UNUSED_PAD src0_sel:DWORD src1_sel:BYTE_3
	v_cndmask_b32_e32 v47, v57, v47, vcc_lo
	v_and_b32_e32 v82, 0x80000000, v82
	v_and_b32_e32 v56, 3, v56
	v_lshl_add_u32 v47, v47, 23, 0x37800000
	v_cndmask_b32_e32 v19, v19, v56, vcc_lo
	v_lshlrev_b32_e32 v19, 21, v19
	v_or3_b32 v19, v82, v47, v19
.LBB2_785:                              ;   in Loop: Header=BB2_504 Depth=2
	s_or_b32 exec_lo, exec_lo, s24
	v_max_f32_e32 v19, v19, v19
	v_max_f32_e32 v20, v20, v20
                                        ; implicit-def: $vgpr82
	v_max_f32_e32 v47, v20, v19
                                        ; implicit-def: $vgpr19_vgpr20
	s_andn2_saveexec_b32 s11, s11
	s_cbranch_execz .LBB2_800
	s_branch .LBB2_787
.LBB2_786:                              ;   in Loop: Header=BB2_504 Depth=2
	s_andn2_saveexec_b32 s11, s11
	s_cbranch_execz .LBB2_800
.LBB2_787:                              ;   in Loop: Header=BB2_504 Depth=2
	v_cmp_gt_i16_sdwa s24, v19, v119 src0_sel:BYTE_3 src1_sel:DWORD
	s_mov_b32 s23, 0
	s_and_saveexec_b32 s25, s24
	s_xor_b32 s24, exec_lo, s25
	s_cbranch_execz .LBB2_886
; %bb.788:                              ;   in Loop: Header=BB2_504 Depth=2
	v_cmp_eq_u16_sdwa s26, v19, v40 src0_sel:BYTE_3 src1_sel:DWORD
	s_mov_b32 s23, -1
	s_and_saveexec_b32 s25, s26
; %bb.789:                              ;   in Loop: Header=BB2_504 Depth=2
	s_xor_b32 s23, exec_lo, -1
; %bb.790:                              ;   in Loop: Header=BB2_504 Depth=2
	s_or_b32 exec_lo, exec_lo, s25
	s_and_b32 s23, s23, exec_lo
	s_or_saveexec_b32 s24, s24
	v_mov_b32_e32 v20, 0x7f800001
	s_xor_b32 exec_lo, exec_lo, s24
	s_cbranch_execnz .LBB2_887
.LBB2_791:                              ;   in Loop: Header=BB2_504 Depth=2
	s_or_b32 exec_lo, exec_lo, s24
	s_and_saveexec_b32 s24, s23
	s_cbranch_execz .LBB2_793
.LBB2_792:                              ;   in Loop: Header=BB2_504 Depth=2
	v_bfe_u32 v20, v19, 24, 2
	v_bfe_u32 v57, v19, 26, 5
	v_ffbh_u32_e32 v47, v20
	v_cmp_eq_u32_e32 vcc_lo, 0, v57
	v_min_u32_e32 v47, 32, v47
	v_subrev_nc_u32_e32 v56, 29, v47
	v_sub_nc_u32_e32 v47, 30, v47
	v_lshlrev_b32_sdwa v56, v56, v19 dst_sel:DWORD dst_unused:UNUSED_PAD src0_sel:DWORD src1_sel:BYTE_3
	v_cndmask_b32_e32 v47, v57, v47, vcc_lo
	v_and_b32_e32 v19, 0x80000000, v19
	v_and_b32_e32 v56, 3, v56
	v_lshl_add_u32 v47, v47, 23, 0x37800000
	v_cndmask_b32_e32 v20, v20, v56, vcc_lo
	v_lshlrev_b32_e32 v20, 21, v20
	v_or3_b32 v20, v19, v47, v20
.LBB2_793:                              ;   in Loop: Header=BB2_504 Depth=2
	s_or_b32 exec_lo, exec_lo, s24
	v_cmp_gt_i16_sdwa s24, v82, v119 src0_sel:BYTE_3 src1_sel:DWORD
	s_mov_b32 s23, 0
	s_and_saveexec_b32 s25, s24
	s_xor_b32 s24, exec_lo, s25
	s_cbranch_execz .LBB2_888
; %bb.794:                              ;   in Loop: Header=BB2_504 Depth=2
	v_cmp_eq_u16_sdwa s26, v82, v40 src0_sel:BYTE_3 src1_sel:DWORD
	s_mov_b32 s23, -1
	s_and_saveexec_b32 s25, s26
; %bb.795:                              ;   in Loop: Header=BB2_504 Depth=2
	s_xor_b32 s23, exec_lo, -1
; %bb.796:                              ;   in Loop: Header=BB2_504 Depth=2
	s_or_b32 exec_lo, exec_lo, s25
	s_and_b32 s23, s23, exec_lo
	s_or_saveexec_b32 s24, s24
	v_mov_b32_e32 v19, 0x7f800001
	s_xor_b32 exec_lo, exec_lo, s24
	s_cbranch_execnz .LBB2_889
.LBB2_797:                              ;   in Loop: Header=BB2_504 Depth=2
	s_or_b32 exec_lo, exec_lo, s24
	s_and_saveexec_b32 s24, s23
	s_cbranch_execz .LBB2_799
.LBB2_798:                              ;   in Loop: Header=BB2_504 Depth=2
	v_bfe_u32 v19, v82, 24, 2
	v_bfe_u32 v57, v82, 26, 5
	v_ffbh_u32_e32 v47, v19
	v_cmp_eq_u32_e32 vcc_lo, 0, v57
	v_min_u32_e32 v47, 32, v47
	v_subrev_nc_u32_e32 v56, 29, v47
	v_sub_nc_u32_e32 v47, 30, v47
	v_lshlrev_b32_sdwa v56, v56, v82 dst_sel:DWORD dst_unused:UNUSED_PAD src0_sel:DWORD src1_sel:BYTE_3
	v_cndmask_b32_e32 v47, v57, v47, vcc_lo
	v_and_b32_e32 v82, 0x80000000, v82
	v_and_b32_e32 v56, 3, v56
	v_lshl_add_u32 v47, v47, 23, 0x37800000
	v_cndmask_b32_e32 v19, v19, v56, vcc_lo
	v_lshlrev_b32_e32 v19, 21, v19
	v_or3_b32 v19, v82, v47, v19
.LBB2_799:                              ;   in Loop: Header=BB2_504 Depth=2
	s_or_b32 exec_lo, exec_lo, s24
	v_max_f32_e32 v19, v19, v19
	v_max_f32_e32 v20, v20, v20
	v_min_f32_e32 v47, v20, v19
.LBB2_800:                              ;   in Loop: Header=BB2_504 Depth=2
	s_or_b32 exec_lo, exec_lo, s11
	v_and_b32_e32 v19, 0x7f800000, v47
	v_mov_b32_e32 v20, 0x8000
	s_mov_b32 s23, exec_lo
	v_cmpx_ne_u32_e32 0x7f800000, v19
	s_cbranch_execz .LBB2_808
; %bb.801:                              ;   in Loop: Header=BB2_504 Depth=2
	v_mov_b32_e32 v20, 0
	s_mov_b32 s24, exec_lo
	v_cmpx_ne_u32_e32 0, v47
	s_cbranch_execz .LBB2_807
; %bb.802:                              ;   in Loop: Header=BB2_504 Depth=2
	v_bfe_u32 v19, v47, 23, 8
	v_and_b32_e32 v20, 0x7fffff, v47
	v_sub_nc_u32_e32 v82, 0x70, v19
	v_cmp_gt_u32_e32 vcc_lo, 0x71, v19
	v_or_b32_e32 v56, 0x800000, v20
	v_cndmask_b32_e32 v82, 0, v82, vcc_lo
	v_cmp_eq_u32_e32 vcc_lo, 0, v19
	v_add_nc_u32_e32 v19, 0xffffff91, v19
	v_cndmask_b32_e64 v82, v82, 0x6f, vcc_lo
	v_cndmask_b32_e32 v20, v56, v20, vcc_lo
	v_cndmask_b32_e64 v19, v19, 0xffffff92, vcc_lo
	v_lshl_add_u32 v56, 0x200000, v82, -1
	v_lshrrev_b32_e32 v57, v82, v20
	v_lshlrev_b32_e64 v59, v82, 0x100000
	v_add_nc_u32_e32 v82, v82, v19
	v_and_b32_e32 v20, v56, v20
	v_bfe_u32 v58, v57, 21, 1
	v_cmp_eq_u32_e64 s11, v20, v59
	v_add_nc_u32_e32 v56, -1, v58
	v_cndmask_b32_e64 v20, 0, v56, s11
	v_lshrrev_b32_e32 v56, 23, v57
	s_mov_b32 s11, exec_lo
	v_add_nc_u32_e32 v20, v20, v57
	v_xor_b32_e32 v56, 1, v56
	v_and_b32_e32 v19, 0x1fffff, v20
	v_add_nc_u32_e32 v20, v19, v57
                                        ; implicit-def: $vgpr19
	v_cmpx_ne_u32_e64 v82, v56
	s_xor_b32 s11, exec_lo, s11
; %bb.803:                              ;   in Loop: Header=BB2_504 Depth=2
	v_cmp_lt_u32_e32 vcc_lo, 0xffffff, v20
	v_sub_nc_u32_e32 v19, v82, v56
	v_cndmask_b32_e64 v82, 0, 1, vcc_lo
	v_add_co_ci_u32_e64 v19, null, 0, v19, vcc_lo
	v_lshrrev_b32_e32 v20, v82, v20
; %bb.804:                              ;   in Loop: Header=BB2_504 Depth=2
	s_andn2_saveexec_b32 s11, s11
; %bb.805:                              ;   in Loop: Header=BB2_504 Depth=2
	v_bfe_u32 v19, v20, 23, 1
; %bb.806:                              ;   in Loop: Header=BB2_504 Depth=2
	s_or_b32 exec_lo, exec_lo, s11
	v_lshrrev_b32_e32 v20, 21, v20
	v_min_i32_e32 v82, 31, v19
	v_cmp_gt_i32_e32 vcc_lo, 32, v19
	v_and_b32_sdwa v47, v47, v40 dst_sel:DWORD dst_unused:UNUSED_PAD src0_sel:BYTE_3 src1_sel:DWORD
	v_lshlrev_b32_e32 v82, 2, v82
	v_cndmask_b32_e32 v20, 3, v20, vcc_lo
	v_and_b32_e32 v82, 0xfc, v82
	v_and_b32_e32 v56, 3, v20
	v_or_b32_e32 v19, v19, v20
	v_or3_b32 v82, v47, v82, v56
	v_cmp_ne_u32_e32 vcc_lo, 0, v19
	v_lshlrev_b32_e32 v20, 8, v82
	v_cndmask_b32_e32 v20, 0, v20, vcc_lo
.LBB2_807:                              ;   in Loop: Header=BB2_504 Depth=2
	s_or_b32 exec_lo, exec_lo, s24
.LBB2_808:                              ;   in Loop: Header=BB2_504 Depth=2
	s_or_b32 exec_lo, exec_lo, s23
	v_or_b32_e32 v52, v52, v18
	v_or_b32_e32 v17, v17, v81
	v_or_b32_e32 v19, v97, v96
	v_or_b32_e32 v18, v20, v46
	v_cmp_lt_u32_e32 vcc_lo, 7, v45
	s_mov_b32 s11, -1
	v_lshl_or_b32 v17, v17, 16, v52
	v_lshl_or_b32 v18, v18, 16, v19
	s_cmp_lg_u32 vcc_lo, exec_lo
	s_cbranch_scc0 .LBB2_824
; %bb.809:                              ;   in Loop: Header=BB2_504 Depth=2
	s_mov_b32 s23, exec_lo
	flat_store_byte v[70:71], v52
	v_cmpx_ne_u32_e32 1, v45
	s_cbranch_execz .LBB2_811
; %bb.810:                              ;   in Loop: Header=BB2_504 Depth=2
	v_lshrrev_b32_e32 v20, 8, v52
	flat_store_byte v[70:71], v20 offset:1
.LBB2_811:                              ;   in Loop: Header=BB2_504 Depth=2
	s_or_b32 exec_lo, exec_lo, s23
	s_mov_b32 s23, exec_lo
	v_cmpx_lt_u32_e32 2, v45
	s_cbranch_execz .LBB2_813
; %bb.812:                              ;   in Loop: Header=BB2_504 Depth=2
	flat_store_byte_d16_hi v[70:71], v17 offset:2
.LBB2_813:                              ;   in Loop: Header=BB2_504 Depth=2
	s_or_b32 exec_lo, exec_lo, s23
	s_mov_b32 s23, exec_lo
	v_cmpx_lt_u32_e32 3, v45
	s_cbranch_execz .LBB2_815
; %bb.814:                              ;   in Loop: Header=BB2_504 Depth=2
	v_lshrrev_b32_e32 v20, 24, v17
	flat_store_byte v[70:71], v20 offset:3
.LBB2_815:                              ;   in Loop: Header=BB2_504 Depth=2
	s_or_b32 exec_lo, exec_lo, s23
	s_mov_b32 s23, exec_lo
	v_cmpx_lt_u32_e32 4, v45
	s_cbranch_execz .LBB2_817
; %bb.816:                              ;   in Loop: Header=BB2_504 Depth=2
	flat_store_byte v[70:71], v19 offset:4
.LBB2_817:                              ;   in Loop: Header=BB2_504 Depth=2
	s_or_b32 exec_lo, exec_lo, s23
	s_mov_b32 s23, exec_lo
	v_cmpx_lt_u32_e32 5, v45
	s_cbranch_execz .LBB2_819
; %bb.818:                              ;   in Loop: Header=BB2_504 Depth=2
	v_lshrrev_b32_e32 v19, 8, v19
	flat_store_byte v[70:71], v19 offset:5
.LBB2_819:                              ;   in Loop: Header=BB2_504 Depth=2
	s_or_b32 exec_lo, exec_lo, s23
	s_mov_b32 s23, exec_lo
	v_cmpx_lt_u32_e32 6, v45
	s_cbranch_execz .LBB2_821
; %bb.820:                              ;   in Loop: Header=BB2_504 Depth=2
	flat_store_byte_d16_hi v[70:71], v18 offset:6
.LBB2_821:                              ;   in Loop: Header=BB2_504 Depth=2
	s_or_b32 exec_lo, exec_lo, s23
	s_and_saveexec_b32 s11, vcc_lo
	s_cbranch_execz .LBB2_823
; %bb.822:                              ;   in Loop: Header=BB2_504 Depth=2
	v_lshrrev_b32_e32 v19, 24, v18
	flat_store_byte v[70:71], v19 offset:7
.LBB2_823:                              ;   in Loop: Header=BB2_504 Depth=2
	s_or_b32 exec_lo, exec_lo, s11
	s_mov_b32 s11, 0
.LBB2_824:                              ;   in Loop: Header=BB2_504 Depth=2
	s_and_b32 vcc_lo, exec_lo, s11
	s_cbranch_vccz .LBB2_503
; %bb.825:                              ;   in Loop: Header=BB2_504 Depth=2
	global_store_dwordx2 v[70:71], v[17:18], off
	s_branch .LBB2_503
.LBB2_826:                              ;   in Loop: Header=BB2_504 Depth=2
	s_or_saveexec_b32 s24, s24
	v_mov_b32_e32 v18, 0x7f800001
	s_xor_b32 exec_lo, exec_lo, s24
	s_cbranch_execz .LBB2_525
.LBB2_827:                              ;   in Loop: Header=BB2_504 Depth=2
	v_cmp_ne_u16_sdwa s25, v17, v53 src0_sel:BYTE_0 src1_sel:DWORD
	v_mov_b32_e32 v18, 0
	s_andn2_b32 s23, s23, exec_lo
	s_and_b32 s25, s25, exec_lo
	s_or_b32 s23, s23, s25
	s_or_b32 exec_lo, exec_lo, s24
	s_and_saveexec_b32 s24, s23
	s_cbranch_execnz .LBB2_526
	s_branch .LBB2_527
.LBB2_828:                              ;   in Loop: Header=BB2_504 Depth=2
	s_or_saveexec_b32 s24, s24
	v_mov_b32_e32 v52, 0x7f800001
	s_xor_b32 exec_lo, exec_lo, s24
	s_cbranch_execz .LBB2_531
.LBB2_829:                              ;   in Loop: Header=BB2_504 Depth=2
	v_cmp_ne_u16_sdwa s25, v82, v53 src0_sel:BYTE_0 src1_sel:DWORD
	v_mov_b32_e32 v52, 0
	s_andn2_b32 s23, s23, exec_lo
	s_and_b32 s25, s25, exec_lo
	s_or_b32 s23, s23, s25
	s_or_b32 exec_lo, exec_lo, s24
	s_and_saveexec_b32 s24, s23
	s_cbranch_execnz .LBB2_532
	s_branch .LBB2_533
.LBB2_830:                              ;   in Loop: Header=BB2_504 Depth=2
	s_or_saveexec_b32 s24, s24
	v_mov_b32_e32 v18, 0x7f800001
	s_xor_b32 exec_lo, exec_lo, s24
	s_cbranch_execz .LBB2_539
.LBB2_831:                              ;   in Loop: Header=BB2_504 Depth=2
	v_cmp_ne_u16_sdwa s25, v17, v53 src0_sel:BYTE_0 src1_sel:DWORD
	v_mov_b32_e32 v18, 0
	s_andn2_b32 s23, s23, exec_lo
	s_and_b32 s25, s25, exec_lo
	s_or_b32 s23, s23, s25
	s_or_b32 exec_lo, exec_lo, s24
	s_and_saveexec_b32 s24, s23
	s_cbranch_execnz .LBB2_540
	s_branch .LBB2_541
.LBB2_832:                              ;   in Loop: Header=BB2_504 Depth=2
	s_or_saveexec_b32 s24, s24
	v_mov_b32_e32 v52, 0x7f800001
	s_xor_b32 exec_lo, exec_lo, s24
	s_cbranch_execz .LBB2_545
.LBB2_833:                              ;   in Loop: Header=BB2_504 Depth=2
	v_cmp_ne_u16_sdwa s25, v82, v53 src0_sel:BYTE_0 src1_sel:DWORD
	v_mov_b32_e32 v52, 0
	s_andn2_b32 s23, s23, exec_lo
	s_and_b32 s25, s25, exec_lo
	s_or_b32 s23, s23, s25
	s_or_b32 exec_lo, exec_lo, s24
	s_and_saveexec_b32 s24, s23
	s_cbranch_execnz .LBB2_546
	s_branch .LBB2_547
.LBB2_834:                              ;   in Loop: Header=BB2_504 Depth=2
	s_or_saveexec_b32 s24, s24
	v_mov_b32_e32 v52, 0x7f800001
	s_xor_b32 exec_lo, exec_lo, s24
	s_cbranch_execz .LBB2_561
.LBB2_835:                              ;   in Loop: Header=BB2_504 Depth=2
	v_cmp_ne_u16_sdwa s25, v17, v53 src0_sel:BYTE_1 src1_sel:DWORD
	v_mov_b32_e32 v52, 0
	s_andn2_b32 s23, s23, exec_lo
	s_and_b32 s25, s25, exec_lo
	s_or_b32 s23, s23, s25
	s_or_b32 exec_lo, exec_lo, s24
	s_and_saveexec_b32 s24, s23
	s_cbranch_execnz .LBB2_562
	s_branch .LBB2_563
.LBB2_836:                              ;   in Loop: Header=BB2_504 Depth=2
	s_or_saveexec_b32 s24, s24
	v_mov_b32_e32 v81, 0x7f800001
	s_xor_b32 exec_lo, exec_lo, s24
	s_cbranch_execz .LBB2_567
.LBB2_837:                              ;   in Loop: Header=BB2_504 Depth=2
	v_cmp_ne_u16_sdwa s25, v82, v53 src0_sel:BYTE_1 src1_sel:DWORD
	v_mov_b32_e32 v81, 0
	s_andn2_b32 s23, s23, exec_lo
	s_and_b32 s25, s25, exec_lo
	s_or_b32 s23, s23, s25
	s_or_b32 exec_lo, exec_lo, s24
	s_and_saveexec_b32 s24, s23
	s_cbranch_execnz .LBB2_568
	s_branch .LBB2_569
.LBB2_838:                              ;   in Loop: Header=BB2_504 Depth=2
	s_or_saveexec_b32 s24, s24
	v_mov_b32_e32 v52, 0x7f800001
	s_xor_b32 exec_lo, exec_lo, s24
	s_cbranch_execz .LBB2_575
.LBB2_839:                              ;   in Loop: Header=BB2_504 Depth=2
	v_cmp_ne_u16_sdwa s25, v17, v53 src0_sel:BYTE_1 src1_sel:DWORD
	v_mov_b32_e32 v52, 0
	s_andn2_b32 s23, s23, exec_lo
	s_and_b32 s25, s25, exec_lo
	s_or_b32 s23, s23, s25
	s_or_b32 exec_lo, exec_lo, s24
	s_and_saveexec_b32 s24, s23
	s_cbranch_execnz .LBB2_576
	s_branch .LBB2_577
.LBB2_840:                              ;   in Loop: Header=BB2_504 Depth=2
	s_or_saveexec_b32 s24, s24
	v_mov_b32_e32 v81, 0x7f800001
	s_xor_b32 exec_lo, exec_lo, s24
	s_cbranch_execz .LBB2_581
.LBB2_841:                              ;   in Loop: Header=BB2_504 Depth=2
	v_cmp_ne_u16_sdwa s25, v82, v53 src0_sel:BYTE_1 src1_sel:DWORD
	v_mov_b32_e32 v81, 0
	s_andn2_b32 s23, s23, exec_lo
	s_and_b32 s25, s25, exec_lo
	s_or_b32 s23, s23, s25
	s_or_b32 exec_lo, exec_lo, s24
	s_and_saveexec_b32 s24, s23
	s_cbranch_execnz .LBB2_582
	s_branch .LBB2_583
.LBB2_842:                              ;   in Loop: Header=BB2_504 Depth=2
	s_or_saveexec_b32 s24, s24
	v_mov_b32_e32 v81, 0x7f800001
	s_xor_b32 exec_lo, exec_lo, s24
	s_cbranch_execz .LBB2_597
.LBB2_843:                              ;   in Loop: Header=BB2_504 Depth=2
	v_cmp_ne_u16_e32 vcc_lo, 0, v46
	v_mov_b32_e32 v81, 0
	s_andn2_b32 s23, s23, exec_lo
	s_and_b32 s25, vcc_lo, exec_lo
	s_or_b32 s23, s23, s25
	s_or_b32 exec_lo, exec_lo, s24
	s_and_saveexec_b32 s24, s23
	s_cbranch_execnz .LBB2_598
	s_branch .LBB2_599
.LBB2_844:                              ;   in Loop: Header=BB2_504 Depth=2
	s_or_saveexec_b32 s24, s24
	v_mov_b32_e32 v46, 0x7f800001
	s_xor_b32 exec_lo, exec_lo, s24
	s_cbranch_execz .LBB2_603
.LBB2_845:                              ;   in Loop: Header=BB2_504 Depth=2
	v_cmp_ne_u16_e32 vcc_lo, 0, v47
	v_mov_b32_e32 v46, 0
	s_andn2_b32 s23, s23, exec_lo
	s_and_b32 s25, vcc_lo, exec_lo
	s_or_b32 s23, s23, s25
	s_or_b32 exec_lo, exec_lo, s24
	s_and_saveexec_b32 s24, s23
	s_cbranch_execnz .LBB2_604
	s_branch .LBB2_605
.LBB2_846:                              ;   in Loop: Header=BB2_504 Depth=2
	s_or_saveexec_b32 s24, s24
	v_mov_b32_e32 v81, 0x7f800001
	s_xor_b32 exec_lo, exec_lo, s24
	s_cbranch_execz .LBB2_611
.LBB2_847:                              ;   in Loop: Header=BB2_504 Depth=2
	v_cmp_ne_u16_e32 vcc_lo, 0, v46
	v_mov_b32_e32 v81, 0
	s_andn2_b32 s23, s23, exec_lo
	s_and_b32 s25, vcc_lo, exec_lo
	s_or_b32 s23, s23, s25
	s_or_b32 exec_lo, exec_lo, s24
	s_and_saveexec_b32 s24, s23
	s_cbranch_execnz .LBB2_612
	s_branch .LBB2_613
.LBB2_848:                              ;   in Loop: Header=BB2_504 Depth=2
	s_or_saveexec_b32 s24, s24
	v_mov_b32_e32 v46, 0x7f800001
	s_xor_b32 exec_lo, exec_lo, s24
	s_cbranch_execz .LBB2_617
.LBB2_849:                              ;   in Loop: Header=BB2_504 Depth=2
	v_cmp_ne_u16_e32 vcc_lo, 0, v47
	v_mov_b32_e32 v46, 0
	s_andn2_b32 s23, s23, exec_lo
	s_and_b32 s25, vcc_lo, exec_lo
	s_or_b32 s23, s23, s25
	s_or_b32 exec_lo, exec_lo, s24
	s_and_saveexec_b32 s24, s23
	s_cbranch_execnz .LBB2_618
	s_branch .LBB2_619
.LBB2_850:                              ;   in Loop: Header=BB2_504 Depth=2
	s_or_saveexec_b32 s24, s24
	v_mov_b32_e32 v46, 0x7f800001
	s_xor_b32 exec_lo, exec_lo, s24
	s_cbranch_execz .LBB2_633
.LBB2_851:                              ;   in Loop: Header=BB2_504 Depth=2
	v_cmp_ne_u16_sdwa s25, v17, v53 src0_sel:BYTE_3 src1_sel:DWORD
	v_mov_b32_e32 v46, 0
	s_andn2_b32 s23, s23, exec_lo
	s_and_b32 s25, s25, exec_lo
	s_or_b32 s23, s23, s25
	s_or_b32 exec_lo, exec_lo, s24
	s_and_saveexec_b32 s24, s23
	s_cbranch_execnz .LBB2_634
	s_branch .LBB2_635
.LBB2_852:                              ;   in Loop: Header=BB2_504 Depth=2
	s_or_saveexec_b32 s24, s24
	v_mov_b32_e32 v17, 0x7f800001
	s_xor_b32 exec_lo, exec_lo, s24
	s_cbranch_execz .LBB2_639
.LBB2_853:                              ;   in Loop: Header=BB2_504 Depth=2
	v_cmp_ne_u16_sdwa s25, v82, v53 src0_sel:BYTE_3 src1_sel:DWORD
	v_mov_b32_e32 v17, 0
	s_andn2_b32 s23, s23, exec_lo
	s_and_b32 s25, s25, exec_lo
	s_or_b32 s23, s23, s25
	s_or_b32 exec_lo, exec_lo, s24
	s_and_saveexec_b32 s24, s23
	s_cbranch_execnz .LBB2_640
	s_branch .LBB2_641
.LBB2_854:                              ;   in Loop: Header=BB2_504 Depth=2
	s_or_saveexec_b32 s24, s24
	v_mov_b32_e32 v46, 0x7f800001
	s_xor_b32 exec_lo, exec_lo, s24
	s_cbranch_execz .LBB2_647
.LBB2_855:                              ;   in Loop: Header=BB2_504 Depth=2
	v_cmp_ne_u16_sdwa s25, v17, v53 src0_sel:BYTE_3 src1_sel:DWORD
	v_mov_b32_e32 v46, 0
	s_andn2_b32 s23, s23, exec_lo
	s_and_b32 s25, s25, exec_lo
	s_or_b32 s23, s23, s25
	s_or_b32 exec_lo, exec_lo, s24
	s_and_saveexec_b32 s24, s23
	s_cbranch_execnz .LBB2_648
	s_branch .LBB2_649
.LBB2_856:                              ;   in Loop: Header=BB2_504 Depth=2
	s_or_saveexec_b32 s24, s24
	v_mov_b32_e32 v17, 0x7f800001
	s_xor_b32 exec_lo, exec_lo, s24
	s_cbranch_execz .LBB2_653
.LBB2_857:                              ;   in Loop: Header=BB2_504 Depth=2
	v_cmp_ne_u16_sdwa s25, v82, v53 src0_sel:BYTE_3 src1_sel:DWORD
	v_mov_b32_e32 v17, 0
	s_andn2_b32 s23, s23, exec_lo
	s_and_b32 s25, s25, exec_lo
	s_or_b32 s23, s23, s25
	s_or_b32 exec_lo, exec_lo, s24
	s_and_saveexec_b32 s24, s23
	s_cbranch_execnz .LBB2_654
	s_branch .LBB2_655
.LBB2_858:                              ;   in Loop: Header=BB2_504 Depth=2
	s_or_saveexec_b32 s24, s24
	v_mov_b32_e32 v20, 0x7f800001
	s_xor_b32 exec_lo, exec_lo, s24
	s_cbranch_execz .LBB2_669
.LBB2_859:                              ;   in Loop: Header=BB2_504 Depth=2
	v_cmp_ne_u16_sdwa s25, v19, v53 src0_sel:BYTE_0 src1_sel:DWORD
	v_mov_b32_e32 v20, 0
	s_andn2_b32 s23, s23, exec_lo
	s_and_b32 s25, s25, exec_lo
	s_or_b32 s23, s23, s25
	s_or_b32 exec_lo, exec_lo, s24
	s_and_saveexec_b32 s24, s23
	s_cbranch_execnz .LBB2_670
	s_branch .LBB2_671
.LBB2_860:                              ;   in Loop: Header=BB2_504 Depth=2
	s_or_saveexec_b32 s24, s24
	v_mov_b32_e32 v96, 0x7f800001
	s_xor_b32 exec_lo, exec_lo, s24
	s_cbranch_execz .LBB2_675
.LBB2_861:                              ;   in Loop: Header=BB2_504 Depth=2
	v_cmp_ne_u16_sdwa s25, v82, v53 src0_sel:BYTE_0 src1_sel:DWORD
	v_mov_b32_e32 v96, 0
	s_andn2_b32 s23, s23, exec_lo
	s_and_b32 s25, s25, exec_lo
	s_or_b32 s23, s23, s25
	s_or_b32 exec_lo, exec_lo, s24
	s_and_saveexec_b32 s24, s23
	s_cbranch_execnz .LBB2_676
	s_branch .LBB2_677
.LBB2_862:                              ;   in Loop: Header=BB2_504 Depth=2
	s_or_saveexec_b32 s24, s24
	v_mov_b32_e32 v20, 0x7f800001
	s_xor_b32 exec_lo, exec_lo, s24
	s_cbranch_execz .LBB2_683
.LBB2_863:                              ;   in Loop: Header=BB2_504 Depth=2
	v_cmp_ne_u16_sdwa s25, v19, v53 src0_sel:BYTE_0 src1_sel:DWORD
	v_mov_b32_e32 v20, 0
	s_andn2_b32 s23, s23, exec_lo
	s_and_b32 s25, s25, exec_lo
	s_or_b32 s23, s23, s25
	s_or_b32 exec_lo, exec_lo, s24
	s_and_saveexec_b32 s24, s23
	s_cbranch_execnz .LBB2_684
	s_branch .LBB2_685
.LBB2_864:                              ;   in Loop: Header=BB2_504 Depth=2
	s_or_saveexec_b32 s24, s24
	v_mov_b32_e32 v96, 0x7f800001
	s_xor_b32 exec_lo, exec_lo, s24
	s_cbranch_execz .LBB2_689
.LBB2_865:                              ;   in Loop: Header=BB2_504 Depth=2
	v_cmp_ne_u16_sdwa s25, v82, v53 src0_sel:BYTE_0 src1_sel:DWORD
	v_mov_b32_e32 v96, 0
	s_andn2_b32 s23, s23, exec_lo
	s_and_b32 s25, s25, exec_lo
	s_or_b32 s23, s23, s25
	s_or_b32 exec_lo, exec_lo, s24
	s_and_saveexec_b32 s24, s23
	s_cbranch_execnz .LBB2_690
	s_branch .LBB2_691
.LBB2_866:                              ;   in Loop: Header=BB2_504 Depth=2
	s_or_saveexec_b32 s24, s24
	v_mov_b32_e32 v20, 0x7f800001
	s_xor_b32 exec_lo, exec_lo, s24
	s_cbranch_execz .LBB2_705
.LBB2_867:                              ;   in Loop: Header=BB2_504 Depth=2
	v_cmp_ne_u16_sdwa s25, v19, v53 src0_sel:BYTE_1 src1_sel:DWORD
	v_mov_b32_e32 v20, 0
	s_andn2_b32 s23, s23, exec_lo
	s_and_b32 s25, s25, exec_lo
	s_or_b32 s23, s23, s25
	s_or_b32 exec_lo, exec_lo, s24
	s_and_saveexec_b32 s24, s23
	s_cbranch_execnz .LBB2_706
	s_branch .LBB2_707
.LBB2_868:                              ;   in Loop: Header=BB2_504 Depth=2
	s_or_saveexec_b32 s24, s24
	v_mov_b32_e32 v97, 0x7f800001
	s_xor_b32 exec_lo, exec_lo, s24
	s_cbranch_execz .LBB2_711
.LBB2_869:                              ;   in Loop: Header=BB2_504 Depth=2
	v_cmp_ne_u16_sdwa s25, v82, v53 src0_sel:BYTE_1 src1_sel:DWORD
	v_mov_b32_e32 v97, 0
	s_andn2_b32 s23, s23, exec_lo
	s_and_b32 s25, s25, exec_lo
	s_or_b32 s23, s23, s25
	s_or_b32 exec_lo, exec_lo, s24
	s_and_saveexec_b32 s24, s23
	s_cbranch_execnz .LBB2_712
	s_branch .LBB2_713
.LBB2_870:                              ;   in Loop: Header=BB2_504 Depth=2
	s_or_saveexec_b32 s24, s24
	v_mov_b32_e32 v20, 0x7f800001
	s_xor_b32 exec_lo, exec_lo, s24
	s_cbranch_execz .LBB2_719
.LBB2_871:                              ;   in Loop: Header=BB2_504 Depth=2
	v_cmp_ne_u16_sdwa s25, v19, v53 src0_sel:BYTE_1 src1_sel:DWORD
	v_mov_b32_e32 v20, 0
	s_andn2_b32 s23, s23, exec_lo
	s_and_b32 s25, s25, exec_lo
	s_or_b32 s23, s23, s25
	s_or_b32 exec_lo, exec_lo, s24
	s_and_saveexec_b32 s24, s23
	s_cbranch_execnz .LBB2_720
	s_branch .LBB2_721
.LBB2_872:                              ;   in Loop: Header=BB2_504 Depth=2
	s_or_saveexec_b32 s24, s24
	v_mov_b32_e32 v97, 0x7f800001
	s_xor_b32 exec_lo, exec_lo, s24
	s_cbranch_execz .LBB2_725
.LBB2_873:                              ;   in Loop: Header=BB2_504 Depth=2
	v_cmp_ne_u16_sdwa s25, v82, v53 src0_sel:BYTE_1 src1_sel:DWORD
	v_mov_b32_e32 v97, 0
	s_andn2_b32 s23, s23, exec_lo
	s_and_b32 s25, s25, exec_lo
	s_or_b32 s23, s23, s25
	s_or_b32 exec_lo, exec_lo, s24
	s_and_saveexec_b32 s24, s23
	s_cbranch_execnz .LBB2_726
	s_branch .LBB2_727
.LBB2_874:                              ;   in Loop: Header=BB2_504 Depth=2
	s_or_saveexec_b32 s24, s24
	v_mov_b32_e32 v20, 0x7f800001
	s_xor_b32 exec_lo, exec_lo, s24
	s_cbranch_execz .LBB2_741
.LBB2_875:                              ;   in Loop: Header=BB2_504 Depth=2
	v_cmp_ne_u16_e32 vcc_lo, 0, v46
	v_mov_b32_e32 v20, 0
	s_andn2_b32 s23, s23, exec_lo
	s_and_b32 s25, vcc_lo, exec_lo
	s_or_b32 s23, s23, s25
	s_or_b32 exec_lo, exec_lo, s24
	s_and_saveexec_b32 s24, s23
	s_cbranch_execnz .LBB2_742
	s_branch .LBB2_743
.LBB2_876:                              ;   in Loop: Header=BB2_504 Depth=2
	s_or_saveexec_b32 s24, s24
	v_mov_b32_e32 v46, 0x7f800001
	s_xor_b32 exec_lo, exec_lo, s24
	s_cbranch_execz .LBB2_747
.LBB2_877:                              ;   in Loop: Header=BB2_504 Depth=2
	v_cmp_ne_u16_e32 vcc_lo, 0, v47
	v_mov_b32_e32 v46, 0
	s_andn2_b32 s23, s23, exec_lo
	s_and_b32 s25, vcc_lo, exec_lo
	s_or_b32 s23, s23, s25
	s_or_b32 exec_lo, exec_lo, s24
	s_and_saveexec_b32 s24, s23
	s_cbranch_execnz .LBB2_748
	s_branch .LBB2_749
.LBB2_878:                              ;   in Loop: Header=BB2_504 Depth=2
	s_or_saveexec_b32 s24, s24
	v_mov_b32_e32 v20, 0x7f800001
	s_xor_b32 exec_lo, exec_lo, s24
	s_cbranch_execz .LBB2_755
.LBB2_879:                              ;   in Loop: Header=BB2_504 Depth=2
	v_cmp_ne_u16_e32 vcc_lo, 0, v46
	v_mov_b32_e32 v20, 0
	s_andn2_b32 s23, s23, exec_lo
	s_and_b32 s25, vcc_lo, exec_lo
	s_or_b32 s23, s23, s25
	s_or_b32 exec_lo, exec_lo, s24
	s_and_saveexec_b32 s24, s23
	s_cbranch_execnz .LBB2_756
	s_branch .LBB2_757
.LBB2_880:                              ;   in Loop: Header=BB2_504 Depth=2
	s_or_saveexec_b32 s24, s24
	v_mov_b32_e32 v46, 0x7f800001
	s_xor_b32 exec_lo, exec_lo, s24
	s_cbranch_execz .LBB2_761
.LBB2_881:                              ;   in Loop: Header=BB2_504 Depth=2
	v_cmp_ne_u16_e32 vcc_lo, 0, v47
	v_mov_b32_e32 v46, 0
	s_andn2_b32 s23, s23, exec_lo
	s_and_b32 s25, vcc_lo, exec_lo
	s_or_b32 s23, s23, s25
	s_or_b32 exec_lo, exec_lo, s24
	s_and_saveexec_b32 s24, s23
	s_cbranch_execnz .LBB2_762
	s_branch .LBB2_763
.LBB2_882:                              ;   in Loop: Header=BB2_504 Depth=2
	s_or_saveexec_b32 s24, s24
	v_mov_b32_e32 v20, 0x7f800001
	s_xor_b32 exec_lo, exec_lo, s24
	s_cbranch_execz .LBB2_777
.LBB2_883:                              ;   in Loop: Header=BB2_504 Depth=2
	v_cmp_ne_u16_sdwa s25, v19, v53 src0_sel:BYTE_3 src1_sel:DWORD
	v_mov_b32_e32 v20, 0
	s_andn2_b32 s23, s23, exec_lo
	s_and_b32 s25, s25, exec_lo
	s_or_b32 s23, s23, s25
	s_or_b32 exec_lo, exec_lo, s24
	s_and_saveexec_b32 s24, s23
	s_cbranch_execnz .LBB2_778
	s_branch .LBB2_779
.LBB2_884:                              ;   in Loop: Header=BB2_504 Depth=2
	s_or_saveexec_b32 s24, s24
	v_mov_b32_e32 v19, 0x7f800001
	s_xor_b32 exec_lo, exec_lo, s24
	s_cbranch_execz .LBB2_783
.LBB2_885:                              ;   in Loop: Header=BB2_504 Depth=2
	v_cmp_ne_u16_sdwa s25, v82, v53 src0_sel:BYTE_3 src1_sel:DWORD
	v_mov_b32_e32 v19, 0
	s_andn2_b32 s23, s23, exec_lo
	s_and_b32 s25, s25, exec_lo
	s_or_b32 s23, s23, s25
	s_or_b32 exec_lo, exec_lo, s24
	s_and_saveexec_b32 s24, s23
	s_cbranch_execnz .LBB2_784
	s_branch .LBB2_785
.LBB2_886:                              ;   in Loop: Header=BB2_504 Depth=2
	s_or_saveexec_b32 s24, s24
	v_mov_b32_e32 v20, 0x7f800001
	s_xor_b32 exec_lo, exec_lo, s24
	s_cbranch_execz .LBB2_791
.LBB2_887:                              ;   in Loop: Header=BB2_504 Depth=2
	v_cmp_ne_u16_sdwa s25, v19, v53 src0_sel:BYTE_3 src1_sel:DWORD
	v_mov_b32_e32 v20, 0
	s_andn2_b32 s23, s23, exec_lo
	s_and_b32 s25, s25, exec_lo
	s_or_b32 s23, s23, s25
	s_or_b32 exec_lo, exec_lo, s24
	s_and_saveexec_b32 s24, s23
	s_cbranch_execnz .LBB2_792
	s_branch .LBB2_793
.LBB2_888:                              ;   in Loop: Header=BB2_504 Depth=2
	s_or_saveexec_b32 s24, s24
	v_mov_b32_e32 v19, 0x7f800001
	s_xor_b32 exec_lo, exec_lo, s24
	s_cbranch_execz .LBB2_797
.LBB2_889:                              ;   in Loop: Header=BB2_504 Depth=2
	v_cmp_ne_u16_sdwa s25, v82, v53 src0_sel:BYTE_3 src1_sel:DWORD
	v_mov_b32_e32 v19, 0
	s_andn2_b32 s23, s23, exec_lo
	s_and_b32 s25, s25, exec_lo
	s_or_b32 s23, s23, s25
	s_or_b32 exec_lo, exec_lo, s24
	s_and_saveexec_b32 s24, s23
	s_cbranch_execnz .LBB2_798
	s_branch .LBB2_799
.LBB2_890:                              ;   in Loop: Header=BB2_21 Depth=1
	s_or_b32 exec_lo, exec_lo, s12
	s_and_saveexec_b32 s11, s7
	s_cbranch_execz .LBB2_903
.LBB2_891:                              ;   in Loop: Header=BB2_21 Depth=1
	s_and_saveexec_b32 s12, s19
	s_xor_b32 s12, exec_lo, s12
	s_cbranch_execz .LBB2_908
; %bb.892:                              ;   in Loop: Header=BB2_21 Depth=1
	s_and_saveexec_b32 s22, s8
	s_cbranch_execz .LBB2_907
; %bb.893:                              ;   in Loop: Header=BB2_21 Depth=1
	s_mov_b32 s24, exec_lo
	s_mov_b32 s23, exec_lo
	v_mbcnt_lo_u32_b32 v17, s24, 0
	s_waitcnt vmcnt(0) lgkmcnt(0)
	s_waitcnt_vscnt null, 0x0
	buffer_gl1_inv
	buffer_gl0_inv
	v_cmpx_eq_u32_e32 0, v17
	s_cbranch_execz .LBB2_895
; %bb.894:                              ;   in Loop: Header=BB2_21 Depth=1
	s_bcnt1_i32_b32 s24, s24
	v_mov_b32_e32 v52, s24
	ds_add_u64 v0, v[52:53]
	s_trap 2
.LBB2_895:                              ;   in Loop: Header=BB2_21 Depth=1
	s_or_b32 exec_lo, exec_lo, s23
	s_trap 2
	ds_read_b64 v[17:18], v0
	s_waitcnt lgkmcnt(0)
	buffer_gl0_inv
	v_add_co_u32 v2, vcc_lo, v2, v100
	v_add_co_ci_u32_e64 v3, null, 0, v3, vcc_lo
	s_mov_b32 s23, exec_lo
	v_cmpx_lt_u64_e64 v[17:18], v[2:3]
	s_cbranch_execz .LBB2_906
; %bb.896:                              ;   in Loop: Header=BB2_21 Depth=1
	s_mov_b32 s24, 0
	s_mov_b32 s27, 0
                                        ; implicit-def: $sgpr25
                                        ; implicit-def: $sgpr26
	s_inst_prefetch 0x1
	s_branch .LBB2_898
	.p2align	6
.LBB2_897:                              ;   in Loop: Header=BB2_898 Depth=2
	s_or_b32 exec_lo, exec_lo, s29
	s_and_b32 s28, exec_lo, s40
	s_or_b32 s24, s28, s24
	s_andn2_b32 s25, s25, exec_lo
	s_and_b32 s28, s26, exec_lo
	s_or_b32 s25, s25, s28
	s_andn2_b32 exec_lo, exec_lo, s24
	s_cbranch_execz .LBB2_904
.LBB2_898:                              ;   Parent Loop BB2_21 Depth=1
                                        ; =>  This Inner Loop Header: Depth=2
	s_add_i32 s27, s27, 1
	s_cmpk_lg_i32 s27, 0x2710
	s_cselect_b32 s28, -1, 0
	s_and_b32 vcc_lo, exec_lo, s28
	s_cbranch_vccz .LBB2_900
; %bb.899:                              ;   in Loop: Header=BB2_898 Depth=2
	s_mov_b32 s40, -1
	s_or_b32 s26, s26, exec_lo
	s_and_saveexec_b32 s29, s28
	s_cbranch_execz .LBB2_897
	s_branch .LBB2_901
	.p2align	6
.LBB2_900:                              ;   in Loop: Header=BB2_898 Depth=2
	s_trap 2
	ds_read_b64 v[17:18], v0
	s_andn2_b32 s28, s28, exec_lo
	s_mov_b32 s27, 0
	s_waitcnt lgkmcnt(0)
	flat_load_dword v17, v[17:18] glc dlc
	s_waitcnt vmcnt(0) lgkmcnt(0)
	buffer_gl1_inv
	buffer_gl0_inv
	v_cmp_eq_u32_e32 vcc_lo, 0, v17
	s_and_b32 s29, vcc_lo, exec_lo
	s_or_b32 s28, s28, s29
	s_mov_b32 s40, -1
	s_or_b32 s26, s26, exec_lo
	s_and_saveexec_b32 s29, s28
	s_cbranch_execz .LBB2_897
.LBB2_901:                              ;   in Loop: Header=BB2_898 Depth=2
	s_sleep 1
	s_trap 2
	ds_read_b64 v[17:18], v0
	s_waitcnt lgkmcnt(0)
	buffer_gl0_inv
	s_andn2_b32 s26, s26, exec_lo
	v_cmp_ge_u64_e32 vcc_lo, v[17:18], v[2:3]
	s_orn2_b32 s40, vcc_lo, exec_lo
	s_branch .LBB2_897
.LBB2_902:                              ;   in Loop: Header=BB2_21 Depth=1
	s_or_b32 exec_lo, exec_lo, s22
	s_or_b32 exec_lo, exec_lo, s12
	s_and_saveexec_b32 s11, s7
	s_cbranch_execnz .LBB2_891
.LBB2_903:                              ;   in Loop: Header=BB2_21 Depth=1
	s_or_b32 exec_lo, exec_lo, s11
	s_and_saveexec_b32 s11, s10
	s_cbranch_execz .LBB2_20
	s_branch .LBB2_911
.LBB2_904:                              ;   in Loop: Header=BB2_21 Depth=1
	s_inst_prefetch 0x2
	s_or_b32 exec_lo, exec_lo, s24
	s_and_saveexec_b32 s24, s25
	s_xor_b32 s24, exec_lo, s24
	s_cbranch_execz .LBB2_906
; %bb.905:                              ;   in Loop: Header=BB2_21 Depth=1
	ds_write_b32 v0, v118
	s_trap 2
.LBB2_906:                              ;   in Loop: Header=BB2_21 Depth=1
	s_or_b32 exec_lo, exec_lo, s23
	;;#ASMSTART
	s_wakeup
	;;#ASMEND
.LBB2_907:                              ;   in Loop: Header=BB2_21 Depth=1
	s_or_b32 exec_lo, exec_lo, s22
.LBB2_908:                              ;   in Loop: Header=BB2_21 Depth=1
	s_andn2_saveexec_b32 s12, s12
	s_cbranch_execz .LBB2_910
; %bb.909:                              ;   in Loop: Header=BB2_21 Depth=1
	s_waitcnt vmcnt(0) lgkmcnt(0)
	s_waitcnt_vscnt null, 0x0
	buffer_gl1_inv
	buffer_gl0_inv
	s_barrier
.LBB2_910:                              ;   in Loop: Header=BB2_21 Depth=1
	s_or_b32 exec_lo, exec_lo, s12
	s_or_b32 exec_lo, exec_lo, s11
	s_and_saveexec_b32 s11, s10
	s_cbranch_execz .LBB2_20
.LBB2_911:                              ;   in Loop: Header=BB2_21 Depth=1
	v_add_co_u32 v38, vcc_lo, v38, 1
	v_add_co_ci_u32_e64 v39, null, 0, v39, vcc_lo
	s_waitcnt vmcnt(0) lgkmcnt(0)
	s_waitcnt_vscnt null, 0x0
	flat_store_dwordx2 v[48:49], v[38:39]
	s_branch .LBB2_20
.LBB2_912:
	s_or_b32 exec_lo, exec_lo, s17
	s_and_saveexec_b32 s5, s16
	s_cbranch_execz .LBB2_915
.LBB2_913:
	s_waitcnt vmcnt(0) lgkmcnt(0)
	flat_store_dwordx2 v[29:30], v[38:39] offset:104
	s_or_b32 exec_lo, exec_lo, s5
	s_and_saveexec_b32 s5, s4
	s_cbranch_execnz .LBB2_916
	s_branch .LBB2_917
.LBB2_914:
	s_or_b32 exec_lo, exec_lo, s20
	s_or_b32 exec_lo, exec_lo, s17
	s_and_saveexec_b32 s5, s16
	s_cbranch_execnz .LBB2_913
.LBB2_915:
	s_or_b32 exec_lo, exec_lo, s5
	s_and_saveexec_b32 s5, s4
	s_cbranch_execz .LBB2_917
.LBB2_916:
	s_waitcnt vmcnt(0) lgkmcnt(0)
	flat_store_dwordx2 v[27:28], v[15:16] offset:104
.LBB2_917:
	s_or_b32 exec_lo, exec_lo, s5
	s_mov_b32 s4, exec_lo
	v_cmpx_ne_u32_e32 32, v1
	s_cbranch_execz .LBB2_935
; %bb.918:
	v_cmp_ne_u32_sdwa s5, v1, v0 src0_sel:DWORD src1_sel:WORD_0
	s_and_saveexec_b32 s6, s5
	s_xor_b32 s5, exec_lo, s6
	s_cbranch_execz .LBB2_933
; %bb.919:
	v_and_b32_e32 v0, 31, v31
	s_mov_b32 s6, exec_lo
	v_cmpx_eq_u32_e32 0, v0
	s_cbranch_execz .LBB2_932
; %bb.920:
	s_mov_b32 s8, exec_lo
	s_mov_b32 s7, exec_lo
	v_mbcnt_lo_u32_b32 v0, s8, 0
	s_waitcnt vmcnt(0) lgkmcnt(0)
	s_waitcnt_vscnt null, 0x0
	buffer_gl1_inv
	buffer_gl0_inv
	v_cmpx_eq_u32_e32 0, v0
	s_cbranch_execz .LBB2_922
; %bb.921:
	s_bcnt1_i32_b32 s8, s8
	v_mov_b32_e32 v5, 0
	v_mov_b32_e32 v4, s8
	ds_add_u64 v0, v[4:5]
	s_trap 2
.LBB2_922:
	s_or_b32 exec_lo, exec_lo, s7
	s_trap 2
	ds_read_b64 v[4:5], v0
	s_waitcnt lgkmcnt(0)
	buffer_gl0_inv
	v_lshrrev_b32_e32 v0, 5, v1
	s_mov_b32 s7, exec_lo
	v_add_co_u32 v0, vcc_lo, v2, v0
	v_add_co_ci_u32_e64 v1, null, 0, v3, vcc_lo
	v_cmpx_lt_u64_e64 v[4:5], v[0:1]
	s_cbranch_execz .LBB2_931
; %bb.923:
	s_mov_b32 s8, 0
	s_mov_b32 s11, 0
                                        ; implicit-def: $sgpr9
                                        ; implicit-def: $sgpr10
	s_inst_prefetch 0x1
	s_branch .LBB2_925
	.p2align	6
.LBB2_924:                              ;   in Loop: Header=BB2_925 Depth=1
	s_or_b32 exec_lo, exec_lo, s13
	s_and_b32 s12, exec_lo, s14
	s_or_b32 s8, s12, s8
	s_andn2_b32 s9, s9, exec_lo
	s_and_b32 s12, s10, exec_lo
	s_or_b32 s9, s9, s12
	s_andn2_b32 exec_lo, exec_lo, s8
	s_cbranch_execz .LBB2_929
.LBB2_925:                              ; =>This Inner Loop Header: Depth=1
	s_add_i32 s11, s11, 1
	s_cmpk_lg_i32 s11, 0x2710
	s_cselect_b32 s12, -1, 0
	s_and_b32 vcc_lo, exec_lo, s12
	s_cbranch_vccz .LBB2_927
; %bb.926:                              ;   in Loop: Header=BB2_925 Depth=1
	s_mov_b32 s14, -1
	s_or_b32 s10, s10, exec_lo
	s_and_saveexec_b32 s13, s12
	s_cbranch_execz .LBB2_924
	s_branch .LBB2_928
	.p2align	6
.LBB2_927:                              ;   in Loop: Header=BB2_925 Depth=1
	s_trap 2
	ds_read_b64 v[2:3], v0
	s_andn2_b32 s12, s12, exec_lo
	s_mov_b32 s11, 0
	s_waitcnt lgkmcnt(0)
	flat_load_dword v2, v[2:3] glc dlc
	s_waitcnt vmcnt(0) lgkmcnt(0)
	buffer_gl1_inv
	buffer_gl0_inv
	v_cmp_eq_u32_e32 vcc_lo, 0, v2
	s_and_b32 s13, vcc_lo, exec_lo
	s_or_b32 s12, s12, s13
	s_mov_b32 s14, -1
	s_or_b32 s10, s10, exec_lo
	s_and_saveexec_b32 s13, s12
	s_cbranch_execz .LBB2_924
.LBB2_928:                              ;   in Loop: Header=BB2_925 Depth=1
	s_sleep 1
	s_trap 2
	ds_read_b64 v[2:3], v0
	s_waitcnt lgkmcnt(0)
	buffer_gl0_inv
	s_andn2_b32 s10, s10, exec_lo
	v_cmp_ge_u64_e32 vcc_lo, v[2:3], v[0:1]
	s_orn2_b32 s14, vcc_lo, exec_lo
	s_branch .LBB2_924
.LBB2_929:
	s_inst_prefetch 0x2
	s_or_b32 exec_lo, exec_lo, s8
	s_and_saveexec_b32 s8, s9
	s_xor_b32 s8, exec_lo, s8
	s_cbranch_execz .LBB2_931
; %bb.930:
	v_mov_b32_e32 v0, 1
	ds_write_b32 v0, v0
	s_trap 2
.LBB2_931:
	s_or_b32 exec_lo, exec_lo, s7
	;;#ASMSTART
	s_wakeup
	;;#ASMEND
.LBB2_932:
	s_or_b32 exec_lo, exec_lo, s6
.LBB2_933:
	s_andn2_saveexec_b32 s5, s5
	s_cbranch_execz .LBB2_935
; %bb.934:
	s_waitcnt vmcnt(0) lgkmcnt(0)
	s_waitcnt_vscnt null, 0x0
	buffer_gl1_inv
	buffer_gl0_inv
	s_barrier
.LBB2_935:
	s_or_b32 exec_lo, exec_lo, s4
	s_clause 0x16
	buffer_load_dword v78, off, s[0:3], s32
	buffer_load_dword v77, off, s[0:3], s32 offset:4
	buffer_load_dword v76, off, s[0:3], s32 offset:8
	;; [unrolled: 1-line block ×22, first 2 shown]
	s_waitcnt vmcnt(0) lgkmcnt(0)
	s_setpc_b64 s[30:31]
.Lfunc_end2:
	.size	_ZN12_GLOBAL__N_17runRingI12rccl_bfloat810FuncMinMaxIS1_E7ProtoLLLi0ELi2ELi0EEEviiP15ncclDevWorkColl, .Lfunc_end2-_ZN12_GLOBAL__N_17runRingI12rccl_bfloat810FuncMinMaxIS1_E7ProtoLLLi0ELi2ELi0EEEviiP15ncclDevWorkColl
                                        ; -- End function
	.set .L_ZN12_GLOBAL__N_17runRingI12rccl_bfloat810FuncMinMaxIS1_E7ProtoLLLi0ELi2ELi0EEEviiP15ncclDevWorkColl.num_vgpr, 120
	.set .L_ZN12_GLOBAL__N_17runRingI12rccl_bfloat810FuncMinMaxIS1_E7ProtoLLLi0ELi2ELi0EEEviiP15ncclDevWorkColl.num_agpr, 0
	.set .L_ZN12_GLOBAL__N_17runRingI12rccl_bfloat810FuncMinMaxIS1_E7ProtoLLLi0ELi2ELi0EEEviiP15ncclDevWorkColl.numbered_sgpr, 45
	.set .L_ZN12_GLOBAL__N_17runRingI12rccl_bfloat810FuncMinMaxIS1_E7ProtoLLLi0ELi2ELi0EEEviiP15ncclDevWorkColl.num_named_barrier, 0
	.set .L_ZN12_GLOBAL__N_17runRingI12rccl_bfloat810FuncMinMaxIS1_E7ProtoLLLi0ELi2ELi0EEEviiP15ncclDevWorkColl.private_seg_size, 96
	.set .L_ZN12_GLOBAL__N_17runRingI12rccl_bfloat810FuncMinMaxIS1_E7ProtoLLLi0ELi2ELi0EEEviiP15ncclDevWorkColl.uses_vcc, 1
	.set .L_ZN12_GLOBAL__N_17runRingI12rccl_bfloat810FuncMinMaxIS1_E7ProtoLLLi0ELi2ELi0EEEviiP15ncclDevWorkColl.uses_flat_scratch, 1
	.set .L_ZN12_GLOBAL__N_17runRingI12rccl_bfloat810FuncMinMaxIS1_E7ProtoLLLi0ELi2ELi0EEEviiP15ncclDevWorkColl.has_dyn_sized_stack, 0
	.set .L_ZN12_GLOBAL__N_17runRingI12rccl_bfloat810FuncMinMaxIS1_E7ProtoLLLi0ELi2ELi0EEEviiP15ncclDevWorkColl.has_recursion, 0
	.set .L_ZN12_GLOBAL__N_17runRingI12rccl_bfloat810FuncMinMaxIS1_E7ProtoLLLi0ELi2ELi0EEEviiP15ncclDevWorkColl.has_indirect_call, 0
	.section	.AMDGPU.csdata,"",@progbits
; Function info:
; codeLenInByte = 30376
; TotalNumSgprs: 47
; NumVgprs: 120
; ScratchSize: 96
; MemoryBound: 0
	.text
	.p2align	2                               ; -- Begin function _Z53ncclDevFunc_ReduceScatter_RING_LL_MinMax_f8e5m2_0_0_2v
	.type	_Z53ncclDevFunc_ReduceScatter_RING_LL_MinMax_f8e5m2_0_0_2v,@function
_Z53ncclDevFunc_ReduceScatter_RING_LL_MinMax_f8e5m2_0_0_2v: ; @_Z53ncclDevFunc_ReduceScatter_RING_LL_MinMax_f8e5m2_0_0_2v
; %bb.0:
	s_waitcnt vmcnt(0) expcnt(0) lgkmcnt(0)
	s_mov_b32 s58, s33
	s_mov_b32 s33, s32
	s_or_saveexec_b32 s4, -1
	buffer_store_dword v42, off, s[0:3], s33 offset:8 ; 4-byte Folded Spill
	s_mov_b32 exec_lo, s4
	s_addk_i32 s32, 0x200
	buffer_store_dword v40, off, s[0:3], s33 offset:4 ; 4-byte Folded Spill
	buffer_store_dword v41, off, s[0:3], s33 ; 4-byte Folded Spill
	v_writelane_b32 v42, s30, 0
	v_writelane_b32 v42, s31, 1
	s_trap 2
	ds_read_b32 v0, v0
	v_and_b32_e32 v40, 0x3ff, v31
	s_mov_b32 s45, s12
	s_mov_b64 s[46:47], s[8:9]
	s_mov_b32 s4, exec_lo
	s_waitcnt lgkmcnt(0)
	v_cmpx_lt_i32_e64 v40, v0
	s_cbranch_execz .LBB3_5
; %bb.1:
	s_load_dword s5, s[46:47], 0x0
	v_mov_b32_e32 v1, 0
	v_mov_b32_e32 v3, v40
                                        ; implicit-def: $vgpr4
	s_waitcnt lgkmcnt(0)
	s_cmp_lt_u32 s45, s5
	s_cselect_b32 s5, 12, 18
	s_add_u32 s6, s46, s5
	s_addc_u32 s7, s47, 0
	s_mov_b32 s5, 0
	global_load_ushort v1, v1, s[6:7]
	s_trap 2
	ds_read_b32 v2, v0
	s_mov_b32 s6, 0
	s_waitcnt vmcnt(0) lgkmcnt(0)
	v_mul_lo_u32 v2, v2, v1
	s_branch .LBB3_3
	.p2align	6
.LBB3_2:                                ;   in Loop: Header=BB3_3 Depth=1
	s_or_b32 exec_lo, exec_lo, s7
	v_add_nc_u32_e32 v3, v3, v1
	v_add_nc_u32_e32 v4, v4, v2
	v_cmp_ge_i32_e32 vcc_lo, v3, v0
	s_or_b32 s6, vcc_lo, s6
	s_andn2_b32 exec_lo, exec_lo, s6
	s_cbranch_execz .LBB3_5
.LBB3_3:                                ; =>This Inner Loop Header: Depth=1
	ds_read_b32 v5, v4
	s_mov_b32 s7, exec_lo
	s_waitcnt lgkmcnt(0)
	v_and_b32_e32 v5, 0x1000000, v5
	v_cmpx_ne_u32_e32 0, v5
	s_cbranch_execz .LBB3_2
; %bb.4:                                ;   in Loop: Header=BB3_3 Depth=1
	ds_read_b64 v[5:6], v4 offset:104
	s_waitcnt lgkmcnt(0)
	flat_load_ubyte v5, v[5:6]
	v_mov_b32_e32 v6, s5
	s_waitcnt vmcnt(0) lgkmcnt(0)
	v_and_b32_e32 v5, 0xffff, v5
	ds_write_b64 v4, v[5:6] offset:104
	s_branch .LBB3_2
.LBB3_5:
	s_or_b32 exec_lo, exec_lo, s4
	s_waitcnt lgkmcnt(0)
	s_waitcnt_vscnt null, 0x0
	s_barrier
	buffer_gl0_inv
	s_trap 2
	ds_read_b32 v0, v0
	s_waitcnt lgkmcnt(0)
	v_cmp_gt_i32_e32 vcc_lo, 1, v0
	s_cbranch_vccnz .LBB3_13
; %bb.6:
	v_mov_b32_e32 v41, 5
	s_mov_b32 s56, 0
	s_inst_prefetch 0x1
	s_branch .LBB3_8
	.p2align	6
.LBB3_7:                                ;   in Loop: Header=BB3_8 Depth=1
	s_or_b32 exec_lo, exec_lo, s57
	s_trap 2
	ds_read_b32 v0, v0
	s_add_i32 s56, s56, 1
	s_waitcnt lgkmcnt(0)
	v_cmp_lt_i32_e32 vcc_lo, s56, v0
	s_cbranch_vccz .LBB3_13
.LBB3_8:                                ; =>This Inner Loop Header: Depth=1
	s_trap 2
	ds_read_b32 v0, v0
	s_cmp_eq_u32 s56, 0
	s_cbranch_scc1 .LBB3_11
; %bb.9:                                ;   in Loop: Header=BB3_8 Depth=1
	s_trap 2
	s_waitcnt lgkmcnt(0)
	ds_read_b32 v1, v0
	s_waitcnt lgkmcnt(0)
	v_xor_b32_e32 v1, v1, v0
	v_and_b32_e32 v1, 0xff0000, v1
	v_cmp_eq_u32_e32 vcc_lo, 0, v1
	s_cbranch_vccnz .LBB3_11
; %bb.10:                               ;   in Loop: Header=BB3_8 Depth=1
	s_barrier
	buffer_gl0_inv
	ds_read_b32 v0, v0
.LBB3_11:                               ;   in Loop: Header=BB3_8 Depth=1
	s_waitcnt lgkmcnt(0)
	v_lshlrev_b32_sdwa v1, v41, v0 dst_sel:DWORD dst_unused:UNUSED_PAD src0_sel:DWORD src1_sel:BYTE_2
	s_mov_b32 s57, exec_lo
	v_cmpx_lt_u32_e64 v40, v1
	s_cbranch_execz .LBB3_7
; %bb.12:                               ;   in Loop: Header=BB3_8 Depth=1
	s_mov_b64 s[4:5], src_shared_base
	v_mov_b32_e32 v0, v40
	v_mov_b32_e32 v3, s5
	s_getpc_b64 s[6:7]
	s_add_u32 s6, s6, _ZN12_GLOBAL__N_17runRingI12rccl_bfloat810FuncMinMaxIS1_E7ProtoLLLi0ELi2ELi0EEEviiP15ncclDevWorkColl@rel32@lo+4
	s_addc_u32 s7, s7, _ZN12_GLOBAL__N_17runRingI12rccl_bfloat810FuncMinMaxIS1_E7ProtoLLLi0ELi2ELi0EEEviiP15ncclDevWorkColl@rel32@hi+12
	s_mov_b64 s[8:9], s[46:47]
	s_mov_b32 s12, s45
	s_swappc_b64 s[30:31], s[6:7]
	s_branch .LBB3_7
.LBB3_13:
	s_inst_prefetch 0x2
	s_clause 0x1
	buffer_load_dword v41, off, s[0:3], s33
	buffer_load_dword v40, off, s[0:3], s33 offset:4
	v_readlane_b32 s30, v42, 0
	v_readlane_b32 s31, v42, 1
	s_mov_b32 s32, s33
	s_or_saveexec_b32 s4, -1
	buffer_load_dword v42, off, s[0:3], s33 offset:8 ; 4-byte Folded Reload
	s_mov_b32 exec_lo, s4
	s_mov_b32 s33, s58
	s_waitcnt vmcnt(0)
	s_setpc_b64 s[30:31]
.Lfunc_end3:
	.size	_Z53ncclDevFunc_ReduceScatter_RING_LL_MinMax_f8e5m2_0_0_2v, .Lfunc_end3-_Z53ncclDevFunc_ReduceScatter_RING_LL_MinMax_f8e5m2_0_0_2v
                                        ; -- End function
	.set .L_Z53ncclDevFunc_ReduceScatter_RING_LL_MinMax_f8e5m2_0_0_2v.num_vgpr, max(43, .L_ZN12_GLOBAL__N_17runRingI12rccl_bfloat810FuncMinMaxIS1_E7ProtoLLLi0ELi2ELi0EEEviiP15ncclDevWorkColl.num_vgpr)
	.set .L_Z53ncclDevFunc_ReduceScatter_RING_LL_MinMax_f8e5m2_0_0_2v.num_agpr, max(0, .L_ZN12_GLOBAL__N_17runRingI12rccl_bfloat810FuncMinMaxIS1_E7ProtoLLLi0ELi2ELi0EEEviiP15ncclDevWorkColl.num_agpr)
	.set .L_Z53ncclDevFunc_ReduceScatter_RING_LL_MinMax_f8e5m2_0_0_2v.numbered_sgpr, max(59, .L_ZN12_GLOBAL__N_17runRingI12rccl_bfloat810FuncMinMaxIS1_E7ProtoLLLi0ELi2ELi0EEEviiP15ncclDevWorkColl.numbered_sgpr)
	.set .L_Z53ncclDevFunc_ReduceScatter_RING_LL_MinMax_f8e5m2_0_0_2v.num_named_barrier, max(0, .L_ZN12_GLOBAL__N_17runRingI12rccl_bfloat810FuncMinMaxIS1_E7ProtoLLLi0ELi2ELi0EEEviiP15ncclDevWorkColl.num_named_barrier)
	.set .L_Z53ncclDevFunc_ReduceScatter_RING_LL_MinMax_f8e5m2_0_0_2v.private_seg_size, 16+max(.L_ZN12_GLOBAL__N_17runRingI12rccl_bfloat810FuncMinMaxIS1_E7ProtoLLLi0ELi2ELi0EEEviiP15ncclDevWorkColl.private_seg_size)
	.set .L_Z53ncclDevFunc_ReduceScatter_RING_LL_MinMax_f8e5m2_0_0_2v.uses_vcc, or(1, .L_ZN12_GLOBAL__N_17runRingI12rccl_bfloat810FuncMinMaxIS1_E7ProtoLLLi0ELi2ELi0EEEviiP15ncclDevWorkColl.uses_vcc)
	.set .L_Z53ncclDevFunc_ReduceScatter_RING_LL_MinMax_f8e5m2_0_0_2v.uses_flat_scratch, or(0, .L_ZN12_GLOBAL__N_17runRingI12rccl_bfloat810FuncMinMaxIS1_E7ProtoLLLi0ELi2ELi0EEEviiP15ncclDevWorkColl.uses_flat_scratch)
	.set .L_Z53ncclDevFunc_ReduceScatter_RING_LL_MinMax_f8e5m2_0_0_2v.has_dyn_sized_stack, or(0, .L_ZN12_GLOBAL__N_17runRingI12rccl_bfloat810FuncMinMaxIS1_E7ProtoLLLi0ELi2ELi0EEEviiP15ncclDevWorkColl.has_dyn_sized_stack)
	.set .L_Z53ncclDevFunc_ReduceScatter_RING_LL_MinMax_f8e5m2_0_0_2v.has_recursion, or(1, .L_ZN12_GLOBAL__N_17runRingI12rccl_bfloat810FuncMinMaxIS1_E7ProtoLLLi0ELi2ELi0EEEviiP15ncclDevWorkColl.has_recursion)
	.set .L_Z53ncclDevFunc_ReduceScatter_RING_LL_MinMax_f8e5m2_0_0_2v.has_indirect_call, or(0, .L_ZN12_GLOBAL__N_17runRingI12rccl_bfloat810FuncMinMaxIS1_E7ProtoLLLi0ELi2ELi0EEEviiP15ncclDevWorkColl.has_indirect_call)
	.section	.AMDGPU.csdata,"",@progbits
; Function info:
; codeLenInByte = 644
; TotalNumSgprs: 61
; NumVgprs: 120
; ScratchSize: 112
; MemoryBound: 0
	.text
	.p2align	2                               ; -- Begin function _ZN12_GLOBAL__N_17runRingI12rccl_bfloat810FuncMinMaxIS1_E7ProtoLLLi0ELi4ELi0EEEviiP15ncclDevWorkColl
	.type	_ZN12_GLOBAL__N_17runRingI12rccl_bfloat810FuncMinMaxIS1_E7ProtoLLLi0ELi4ELi0EEEviiP15ncclDevWorkColl,@function
_ZN12_GLOBAL__N_17runRingI12rccl_bfloat810FuncMinMaxIS1_E7ProtoLLLi0ELi4ELi0EEEviiP15ncclDevWorkColl: ; @_ZN12_GLOBAL__N_17runRingI12rccl_bfloat810FuncMinMaxIS1_E7ProtoLLLi0ELi4ELi0EEEviiP15ncclDevWorkColl
; %bb.0:
	s_waitcnt vmcnt(0) expcnt(0) lgkmcnt(0)
	buffer_store_dword v40, off, s[0:3], s32 offset:88 ; 4-byte Folded Spill
	buffer_store_dword v41, off, s[0:3], s32 offset:84 ; 4-byte Folded Spill
	;; [unrolled: 1-line block ×22, first 2 shown]
	buffer_store_dword v78, off, s[0:3], s32 ; 4-byte Folded Spill
	s_trap 2
	s_clause 0x2
	flat_load_dword v10, v[2:3]
	flat_load_dwordx4 v[5:8], v[2:3] offset:72
	flat_load_dwordx2 v[17:18], v[2:3] offset:88
	v_mov_b32_e32 v4, v0
                                        ; implicit-def: $vgpr25_vgpr26
	s_waitcnt vmcnt(2) lgkmcnt(2)
	v_not_b32_sdwa v0, v10 dst_sel:DWORD dst_unused:UNUSED_PAD src0_sel:BYTE_0
	ds_read_b32 v9, v0
	ds_read_b64 v[23:24], v0
	v_add_nc_u32_sdwa v11, v10, v0 dst_sel:DWORD dst_unused:UNUSED_PAD src0_sel:BYTE_1 src1_sel:DWORD
	v_ashrrev_i32_e32 v12, 31, v11
	s_waitcnt vmcnt(1) lgkmcnt(3)
	v_mul_lo_u32 v13, v8, v11
	v_mad_u64_u32 v[19:20], null, v7, v11, 0
	v_mul_lo_u32 v11, v7, v12
	v_add3_u32 v66, v20, v11, v13
	s_waitcnt lgkmcnt(1)
	v_readfirstlane_b32 s14, v9
	v_cmp_ne_u32_sdwa s4, v9, v10 src0_sel:DWORD src1_sel:BYTE_0
                                        ; implicit-def: $vgpr20_vgpr21
	s_and_saveexec_b32 s5, s4
	s_xor_b32 s4, exec_lo, s5
	s_cbranch_execz .LBB4_6
; %bb.1:
	v_cmp_ne_u32_sdwa s5, v9, v10 src0_sel:DWORD src1_sel:BYTE_1
                                        ; implicit-def: $vgpr20_vgpr21
                                        ; implicit-def: $vgpr25_vgpr26
	s_and_saveexec_b32 s6, s5
	s_xor_b32 s5, exec_lo, s6
	s_cbranch_execz .LBB4_3
; %bb.2:
	flat_load_dwordx2 v[10:11], v[2:3] offset:96
	v_add_nc_u32_e32 v0, v9, v0
	v_ashrrev_i32_e32 v9, 31, v0
	v_mul_lo_u32 v12, v8, v0
	v_mad_u64_u32 v[25:26], null, v7, v0, v[5:6]
	v_mul_lo_u32 v9, v7, v9
	v_add3_u32 v26, v12, v26, v9
	s_waitcnt vmcnt(0) lgkmcnt(0)
	v_lshrrev_b64 v[20:21], 17, v[10:11]
.LBB4_3:
	s_andn2_saveexec_b32 s5, s5
	s_cbranch_execz .LBB4_5
; %bb.4:
	flat_load_dword v0, v[2:3] offset:100
	v_add_co_u32 v25, vcc_lo, v19, v5
	s_waitcnt vmcnt(1)
	v_mov_b32_e32 v7, v17
	v_add_co_ci_u32_e64 v26, null, v66, v6, vcc_lo
	v_mov_b32_e32 v8, v18
	s_waitcnt vmcnt(0) lgkmcnt(0)
	v_lshrrev_b32_e32 v20, 6, v0
.LBB4_5:
	s_or_b32 exec_lo, exec_lo, s5
.LBB4_6:
	s_andn2_saveexec_b32 s4, s4
	s_cbranch_execz .LBB4_8
; %bb.7:
	flat_load_dwordx2 v[7:8], v[2:3] offset:96
	v_mov_b32_e32 v25, 0
	v_mov_b32_e32 v26, 0
	s_waitcnt vmcnt(0) lgkmcnt(0)
	v_lshlrev_b64 v[20:21], 4, v[7:8]
	v_mov_b32_e32 v8, v6
	v_mov_b32_e32 v7, v5
.LBB4_8:
	s_or_b32 exec_lo, exec_lo, s4
	s_load_dword s4, s[8:9], 0x0
	v_mov_b32_e32 v14, 0
	s_clause 0x2
	flat_load_dwordx2 v[52:53], v[2:3] offset:104
	flat_load_ushort v16, v[2:3] offset:8
	flat_load_dword v15, v[2:3] offset:4
	v_and_b32_e32 v38, 31, v4
	v_mov_b32_e32 v27, 0
	v_mov_b32_e32 v28, 0
	s_mov_b32 s6, 0
	s_waitcnt lgkmcnt(0)
	s_cmp_lt_u32 s12, s4
	s_cselect_b32 s4, 12, 18
	s_add_u32 s4, s8, s4
	s_addc_u32 s5, s9, 0
	flat_load_dwordx4 v[9:12], v[2:3] offset:16
	global_load_ushort v0, v14, s[4:5]
	s_trap 2
	v_cmp_eq_u32_e64 s4, 0, v38
	s_waitcnt vmcnt(2)
	v_lshrrev_b64 v[2:3], 31, v[15:16]
	v_and_b32_e32 v2, 3, v2
	v_and_b32_e32 v15, 0xffff, v2
	s_waitcnt vmcnt(0)
	ds_read_b32 v13, v0
	s_waitcnt lgkmcnt(0)
	v_cmp_gt_i32_e32 vcc_lo, 0, v13
	v_readfirstlane_b32 s5, v13
	s_cbranch_vccnz .LBB4_10
; %bb.9:
	s_trap 2
	ds_read_b64 v[2:3], v0
	v_lshlrev_b64 v[13:14], 3, v[13:14]
	s_mov_b32 s6, 1
	s_waitcnt lgkmcnt(0)
	v_add_co_u32 v2, vcc_lo, v2, v13
	v_add_co_ci_u32_e64 v3, null, v3, v14, vcc_lo
	flat_load_dwordx2 v[2:3], v[2:3]
	s_waitcnt vmcnt(0) lgkmcnt(0)
	v_mad_u64_u32 v[2:3], null, 0xa8, v15, v[2:3]
	s_clause 0x1
	flat_load_dwordx2 v[32:33], v[2:3] offset:504
	flat_load_dwordx2 v[34:35], v[2:3] offset:608
	v_add_co_u32 v29, vcc_lo, 0x1f8, v2
	v_add_co_ci_u32_e64 v30, null, 0, v3, vcc_lo
	v_cndmask_b32_e64 v2, 0, v29, s4
	v_cndmask_b32_e64 v3, 0, v30, s4
	s_branch .LBB4_11
.LBB4_10:
	v_mov_b32_e32 v29, 0
	v_mov_b32_e32 v2, 0
	;; [unrolled: 1-line block ×4, first 2 shown]
                                        ; implicit-def: $vgpr34_vgpr35
                                        ; implicit-def: $vgpr32_vgpr33
.LBB4_11:
	s_trap 2
	ds_read_b32 v13, v0
	s_waitcnt lgkmcnt(0)
	v_cmp_gt_i32_e32 vcc_lo, 0, v13
	s_cbranch_vccnz .LBB4_13
; %bb.12:
	s_trap 2
	ds_read_b64 v[21:22], v0
	v_mov_b32_e32 v14, 0
	v_lshlrev_b64 v[13:14], 3, v[13:14]
	s_waitcnt lgkmcnt(0)
	v_add_co_u32 v13, vcc_lo, v21, v13
	v_add_co_ci_u32_e64 v14, null, v22, v14, vcc_lo
	v_cmp_eq_u32_e32 vcc_lo, 0, v38
	flat_load_dwordx2 v[13:14], v[13:14]
	s_waitcnt vmcnt(0) lgkmcnt(0)
	v_mad_u64_u32 v[27:28], null, 0xa8, v15, v[13:14]
	s_clause 0x1
	flat_load_dwordx2 v[36:37], v[27:28]
	flat_load_dwordx2 v[21:22], v[27:28] offset:104
	v_cndmask_b32_e32 v16, 0, v28, vcc_lo
	v_cndmask_b32_e32 v15, 0, v27, vcc_lo
	s_branch .LBB4_14
.LBB4_13:
	v_mov_b32_e32 v15, 0
	v_mov_b32_e32 v16, 0
                                        ; implicit-def: $vgpr21_vgpr22
                                        ; implicit-def: $vgpr36_vgpr37
.LBB4_14:
	v_subrev_nc_u32_e32 v13, 32, v1
	v_cmp_gt_u32_e32 vcc_lo, s6, v38
	v_mov_b32_e32 v48, 0
	v_mov_b32_e32 v49, 0
                                        ; implicit-def: $vgpr38_vgpr39
	v_cmp_ge_i32_e64 s4, v4, v13
	v_mov_b32_e32 v13, 0
	v_mov_b32_e32 v14, 0
	s_and_b32 s16, s4, vcc_lo
	s_and_saveexec_b32 s4, s16
	s_cbranch_execz .LBB4_16
; %bb.15:
	s_clause 0x1
	flat_load_dwordx2 v[48:49], v[2:3] offset:56
	flat_load_dwordx2 v[38:39], v[2:3] offset:104
.LBB4_16:
	s_or_b32 exec_lo, exec_lo, s4
	v_mov_b32_e32 v50, 0
	v_mov_b32_e32 v51, 0
	v_cmp_gt_u32_e64 s4, s6, v4
                                        ; implicit-def: $vgpr54_vgpr55
	s_and_saveexec_b32 s6, s4
	s_cbranch_execz .LBB4_18
; %bb.17:
	flat_load_dwordx2 v[50:51], v[15:16] offset:56
	s_waitcnt vmcnt(0) lgkmcnt(0)
	flat_load_dwordx2 v[54:55], v[50:51] glc dlc
	s_waitcnt vmcnt(0)
	flat_load_dwordx4 v[13:16], v[15:16] offset:96
.LBB4_18:
	s_or_b32 exec_lo, exec_lo, s6
	v_mov_b32_e32 v2, 0
	v_mov_b32_e32 v3, 0
	s_mov_b32 s17, exec_lo
	v_cmpx_ne_u64_e32 0, v[7:8]
	s_cbranch_execz .LBB4_912
; %bb.19:
	s_ashr_i32 s6, s5, 31
	s_ashr_i32 s15, s14, 31
	s_lshr_b32 s6, s6, 29
	v_add_co_u32 v2, vcc_lo, v17, v5
	s_add_i32 s5, s5, s6
	s_lshl_b64 s[6:7], s[14:15], 2
	v_add_co_ci_u32_e64 v3, null, v18, v6, vcc_lo
	v_add_co_u32 v5, vcc_lo, v23, s6
	v_add_co_ci_u32_e64 v6, null, s7, v24, vcc_lo
	v_add_co_u32 v98, vcc_lo, v2, v19
	v_and_b32_e32 v2, 31, v31
	v_lshlrev_b32_e32 v101, 3, v4
	v_mov_b32_e32 v53, 0
	s_ashr_i32 s8, s5, 3
	v_add_co_ci_u32_e64 v99, null, v3, v66, vcc_lo
	v_add_co_u32 v66, vcc_lo, v5, -4
	s_and_b32 s15, s8, -16
	v_cmp_eq_u32_e64 s8, 0, v2
	v_and_b32_e32 v2, 1, v52
	v_add_co_ci_u32_e64 v67, null, -1, v6, vcc_lo
	v_add_co_u32 v103, vcc_lo, v11, v101
	v_mov_b32_e32 v5, v53
	v_add_co_ci_u32_e64 v112, null, 0, v12, vcc_lo
	v_add_co_u32 v113, vcc_lo, v9, v101
	v_cmp_eq_u32_e64 s9, 1, v2
	v_add_co_ci_u32_e64 v114, null, 0, v10, vcc_lo
	v_add_co_u32 v2, vcc_lo, v25, v11
	v_lshlrev_b64 v[9:10], 4, v[4:5]
	v_add_co_ci_u32_e64 v3, null, v26, v12, vcc_lo
	v_add_co_u32 v5, vcc_lo, v2, v101
	v_mov_b32_e32 v2, v53
	v_add_co_ci_u32_e64 v6, null, 0, v3, vcc_lo
	s_waitcnt vmcnt(1) lgkmcnt(1)
	v_add_co_u32 v116, vcc_lo, v36, v9
	s_ashr_i32 s18, s5, 7
	v_mov_b32_e32 v68, 0
	v_cmp_ne_u64_e64 s5, 0, v[50:51]
	s_waitcnt vmcnt(0) lgkmcnt(0)
	v_cmp_ne_u64_e64 s6, 0, v[13:14]
	v_cmp_ne_u64_e64 s10, 0, v[48:49]
	v_add_co_ci_u32_e64 v117, null, v37, v10, vcc_lo
	v_lshlrev_b64 v[9:10], 4, v[1:2]
	v_mov_b32_e32 v2, 0
	v_and_b32_e32 v64, 0x1fffff0, v20
	v_mov_b32_e32 v65, v53
	v_mov_b32_e32 v69, 0
	v_cmp_ne_u32_e64 s7, 32, v1
	v_cmp_ne_u32_sdwa s19, v1, v0 src0_sel:DWORD src1_sel:WORD_0
	v_lshrrev_b32_e32 v100, 5, v1
	v_lshlrev_b32_e32 v102, 3, v1
	v_lshlrev_b32_e32 v115, 6, v1
	v_mov_b32_e32 v118, 1
	v_mov_b32_e32 v119, 0x7f
	;; [unrolled: 1-line block ×8, first 2 shown]
	s_cmp_gt_i32 s14, 2
	s_mov_b32 s13, 0
	s_cselect_b32 s21, -1, 0
	s_mov_b32 s20, 0
	s_branch .LBB4_21
.LBB4_20:                               ;   in Loop: Header=BB4_21 Depth=1
	s_or_b32 exec_lo, exec_lo, s11
	v_add_co_u32 v68, vcc_lo, v68, v64
	v_add_co_ci_u32_e64 v69, null, 0, v69, vcc_lo
	v_add_co_u32 v34, vcc_lo, v34, 1
	v_add_co_ci_u32_e64 v35, null, 0, v35, vcc_lo
	v_cmp_ge_u64_e32 vcc_lo, v[68:69], v[7:8]
	v_add_co_u32 v5, s11, v5, v64
	v_add_co_ci_u32_e64 v6, null, 0, v6, s11
	s_or_b32 s20, vcc_lo, s20
	s_andn2_b32 exec_lo, exec_lo, s20
	s_cbranch_execz .LBB4_914
.LBB4_21:                               ; =>This Loop Header: Depth=1
                                        ;     Child Loop BB4_26 Depth 2
                                        ;     Child Loop BB4_45 Depth 2
	;; [unrolled: 1-line block ×5, first 2 shown]
                                        ;       Child Loop BB4_75 Depth 3
                                        ;       Child Loop BB4_94 Depth 3
	;; [unrolled: 1-line block ×3, first 2 shown]
                                        ;         Child Loop BB4_118 Depth 4
                                        ;       Child Loop BB4_484 Depth 3
                                        ;       Child Loop BB4_493 Depth 3
                                        ;     Child Loop BB4_504 Depth 2
                                        ;       Child Loop BB4_512 Depth 3
                                        ;     Child Loop BB4_898 Depth 2
	s_waitcnt vmcnt(0) lgkmcnt(0)
	flat_load_dword v19, v[66:67]
	v_sub_co_u32 v17, vcc_lo, v7, v68
	v_sub_co_ci_u32_e64 v18, null, v8, v69, vcc_lo
	v_cmp_lt_u64_e32 vcc_lo, v[64:65], v[17:18]
	v_cndmask_b32_e32 v20, v17, v64, vcc_lo
	v_lshl_add_u32 v17, v20, 1, 14
	v_and_b32_e32 v46, 0x7fffff0, v17
	s_and_saveexec_b32 s12, s5
	s_cbranch_execz .LBB4_37
; %bb.22:                               ;   in Loop: Header=BB4_21 Depth=1
	v_add_co_u32 v17, vcc_lo, v15, 1
	v_add_co_ci_u32_e64 v18, null, 0, v16, vcc_lo
	v_add_co_u32 v70, vcc_lo, v54, 8
	v_add_co_ci_u32_e64 v71, null, 0, v55, vcc_lo
	s_mov_b32 s22, exec_lo
	v_cmpx_lt_u64_e64 v[70:71], v[17:18]
	s_cbranch_execz .LBB4_34
; %bb.23:                               ;   in Loop: Header=BB4_21 Depth=1
	s_mov_b32 s23, 0
	s_mov_b32 s27, 0
	v_cmp_eq_u32_e32 vcc_lo, 0, v44
                                        ; implicit-def: $sgpr24
                                        ; implicit-def: $sgpr25
                                        ; implicit-def: $sgpr26
	s_branch .LBB4_26
.LBB4_24:                               ;   in Loop: Header=BB4_26 Depth=2
	s_or_b32 exec_lo, exec_lo, s42
	s_andn2_b32 s11, s26, exec_lo
	s_and_b32 s26, s40, exec_lo
	s_andn2_b32 s25, s25, exec_lo
	s_and_b32 s29, s29, exec_lo
	s_or_b32 s26, s11, s26
	s_or_b32 s25, s25, s29
.LBB4_25:                               ;   in Loop: Header=BB4_26 Depth=2
	s_or_b32 exec_lo, exec_lo, s28
	s_and_b32 s11, exec_lo, s25
	s_or_b32 s23, s11, s23
	s_andn2_b32 s11, s24, exec_lo
	s_and_b32 s24, s26, exec_lo
	s_or_b32 s24, s11, s24
	s_andn2_b32 exec_lo, exec_lo, s23
	s_cbranch_execz .LBB4_31
.LBB4_26:                               ;   Parent Loop BB4_21 Depth=1
                                        ; =>  This Inner Loop Header: Depth=2
	s_sleep 1
	s_waitcnt vmcnt(0) lgkmcnt(0)
	flat_load_dwordx2 v[54:55], v[50:51] glc dlc
	v_mov_b32_e32 v44, 1
	s_or_b32 s26, s26, exec_lo
	s_or_b32 s25, s25, exec_lo
                                        ; implicit-def: $vgpr16
	s_and_saveexec_b32 s28, vcc_lo
	s_cbranch_execz .LBB4_25
; %bb.27:                               ;   in Loop: Header=BB4_26 Depth=2
	s_add_i32 s27, s27, 1
	s_mov_b32 s29, -1
	s_cmpk_lg_i32 s27, 0x2710
	s_mov_b32 s40, -1
	s_cselect_b32 s41, -1, 0
	s_cmpk_eq_i32 s27, 0x2710
                                        ; implicit-def: $vgpr16
	s_cbranch_scc1 .LBB4_29
; %bb.28:                               ;   in Loop: Header=BB4_26 Depth=2
	v_mov_b32_e32 v44, 1
	s_and_saveexec_b32 s42, s41
	s_cbranch_execz .LBB4_24
	s_branch .LBB4_30
.LBB4_29:                               ;   in Loop: Header=BB4_26 Depth=2
	s_trap 2
	ds_read_b64 v[70:71], v0
	s_andn2_b32 s27, s41, exec_lo
	s_mov_b32 s40, 0
	s_waitcnt vmcnt(0) lgkmcnt(0)
	s_waitcnt_vscnt null, 0x0
	flat_load_dword v16, v[70:71] glc dlc
	s_waitcnt vmcnt(0) lgkmcnt(0)
	buffer_gl1_inv
	buffer_gl0_inv
	v_cmp_eq_u32_e64 s11, 0, v16
	s_and_b32 s11, s11, exec_lo
	s_or_b32 s41, s27, s11
	s_mov_b32 s27, 0
	v_mov_b32_e32 v44, 1
	s_and_saveexec_b32 s42, s41
	s_cbranch_execz .LBB4_24
.LBB4_30:                               ;   in Loop: Header=BB4_26 Depth=2
	s_waitcnt vmcnt(0) lgkmcnt(0)
	v_add_co_u32 v70, s11, v54, 8
	v_add_co_ci_u32_e64 v71, null, 0, v55, s11
	v_mov_b32_e32 v44, 0
	s_or_b32 s40, s40, exec_lo
	v_cmp_ge_u64_e64 s11, v[70:71], v[17:18]
	s_orn2_b32 s29, s11, exec_lo
	s_branch .LBB4_24
.LBB4_31:                               ;   in Loop: Header=BB4_21 Depth=1
	s_or_b32 exec_lo, exec_lo, s23
	s_xor_b32 s11, s24, -1
	s_and_saveexec_b32 s23, s11
	s_xor_b32 s11, exec_lo, s23
	s_cbranch_execz .LBB4_33
; %bb.32:                               ;   in Loop: Header=BB4_21 Depth=1
	v_mov_b32_e32 v44, 1
	s_waitcnt vmcnt(0) lgkmcnt(0)
	s_waitcnt_vscnt null, 0x0
	ds_write_b32 v0, v16
	s_trap 2
.LBB4_33:                               ;   in Loop: Header=BB4_21 Depth=1
	s_or_b32 exec_lo, exec_lo, s11
.LBB4_34:                               ;   in Loop: Header=BB4_21 Depth=1
	s_or_b32 exec_lo, exec_lo, s22
	s_and_saveexec_b32 s11, s6
	s_cbranch_execz .LBB4_36
; %bb.35:                               ;   in Loop: Header=BB4_21 Depth=1
	v_and_b32_e32 v52, 0x7ffffff8, v15
	v_and_b32_e32 v16, 7, v15
	v_cmp_eq_u64_e32 vcc_lo, 0x7ffffff8, v[52:53]
	v_mad_u64_u32 v[70:71], null, v16, 24, v[13:14]
	v_cndmask_b32_e64 v15, v46, s15, vcc_lo
	v_ashrrev_i32_e32 v16, 31, v15
	flat_store_dwordx2 v[70:71], v[15:16] offset:8
	s_waitcnt_vscnt null, 0x0
.LBB4_36:                               ;   in Loop: Header=BB4_21 Depth=1
	s_or_b32 exec_lo, exec_lo, s11
	v_mov_b32_e32 v15, v17
	v_mov_b32_e32 v16, v18
.LBB4_37:                               ;   in Loop: Header=BB4_21 Depth=1
	s_or_b32 exec_lo, exec_lo, s12
	s_and_saveexec_b32 s11, s7
	s_cbranch_execz .LBB4_56
; %bb.38:                               ;   in Loop: Header=BB4_21 Depth=1
	s_and_saveexec_b32 s12, s19
	s_xor_b32 s12, exec_lo, s12
	s_cbranch_execz .LBB4_53
; %bb.39:                               ;   in Loop: Header=BB4_21 Depth=1
	s_and_saveexec_b32 s22, s8
	s_cbranch_execz .LBB4_52
; %bb.40:                               ;   in Loop: Header=BB4_21 Depth=1
	s_mov_b32 s24, exec_lo
	s_mov_b32 s23, exec_lo
	v_mbcnt_lo_u32_b32 v17, s24, 0
	s_waitcnt vmcnt(0) lgkmcnt(0)
	s_waitcnt_vscnt null, 0x0
	buffer_gl1_inv
	buffer_gl0_inv
	v_cmpx_eq_u32_e32 0, v17
	s_cbranch_execz .LBB4_42
; %bb.41:                               ;   in Loop: Header=BB4_21 Depth=1
	s_bcnt1_i32_b32 s24, s24
	v_mov_b32_e32 v52, s24
	ds_add_u64 v0, v[52:53]
	s_trap 2
.LBB4_42:                               ;   in Loop: Header=BB4_21 Depth=1
	s_or_b32 exec_lo, exec_lo, s23
	s_trap 2
	ds_read_b64 v[17:18], v0
	s_waitcnt lgkmcnt(0)
	buffer_gl0_inv
	v_add_co_u32 v2, vcc_lo, v2, v100
	v_add_co_ci_u32_e64 v3, null, 0, v3, vcc_lo
	s_mov_b32 s23, exec_lo
	v_cmpx_lt_u64_e64 v[17:18], v[2:3]
	s_cbranch_execz .LBB4_51
; %bb.43:                               ;   in Loop: Header=BB4_21 Depth=1
	s_mov_b32 s24, 0
	s_mov_b32 s27, 0
                                        ; implicit-def: $sgpr25
                                        ; implicit-def: $sgpr26
	s_inst_prefetch 0x1
	s_branch .LBB4_45
	.p2align	6
.LBB4_44:                               ;   in Loop: Header=BB4_45 Depth=2
	s_or_b32 exec_lo, exec_lo, s29
	s_and_b32 s28, exec_lo, s40
	s_or_b32 s24, s28, s24
	s_andn2_b32 s25, s25, exec_lo
	s_and_b32 s28, s26, exec_lo
	s_or_b32 s25, s25, s28
	s_andn2_b32 exec_lo, exec_lo, s24
	s_cbranch_execz .LBB4_49
.LBB4_45:                               ;   Parent Loop BB4_21 Depth=1
                                        ; =>  This Inner Loop Header: Depth=2
	s_add_i32 s27, s27, 1
	s_cmpk_lg_i32 s27, 0x2710
	s_cselect_b32 s28, -1, 0
	s_and_b32 vcc_lo, exec_lo, s28
	s_cbranch_vccz .LBB4_47
; %bb.46:                               ;   in Loop: Header=BB4_45 Depth=2
	s_mov_b32 s40, -1
	s_or_b32 s26, s26, exec_lo
	s_and_saveexec_b32 s29, s28
	s_cbranch_execz .LBB4_44
	s_branch .LBB4_48
	.p2align	6
.LBB4_47:                               ;   in Loop: Header=BB4_45 Depth=2
	s_trap 2
	ds_read_b64 v[17:18], v0
	s_andn2_b32 s28, s28, exec_lo
	s_mov_b32 s27, 0
	s_waitcnt lgkmcnt(0)
	flat_load_dword v17, v[17:18] glc dlc
	s_waitcnt vmcnt(0) lgkmcnt(0)
	buffer_gl1_inv
	buffer_gl0_inv
	v_cmp_eq_u32_e32 vcc_lo, 0, v17
	s_and_b32 s29, vcc_lo, exec_lo
	s_or_b32 s28, s28, s29
	s_mov_b32 s40, -1
	s_or_b32 s26, s26, exec_lo
	s_and_saveexec_b32 s29, s28
	s_cbranch_execz .LBB4_44
.LBB4_48:                               ;   in Loop: Header=BB4_45 Depth=2
	s_sleep 1
	s_trap 2
	ds_read_b64 v[17:18], v0
	s_waitcnt lgkmcnt(0)
	buffer_gl0_inv
	s_andn2_b32 s26, s26, exec_lo
	v_cmp_ge_u64_e32 vcc_lo, v[17:18], v[2:3]
	s_orn2_b32 s40, vcc_lo, exec_lo
	s_branch .LBB4_44
.LBB4_49:                               ;   in Loop: Header=BB4_21 Depth=1
	s_inst_prefetch 0x2
	s_or_b32 exec_lo, exec_lo, s24
	s_and_saveexec_b32 s24, s25
	s_xor_b32 s24, exec_lo, s24
	s_cbranch_execz .LBB4_51
; %bb.50:                               ;   in Loop: Header=BB4_21 Depth=1
	ds_write_b32 v0, v118
	s_trap 2
.LBB4_51:                               ;   in Loop: Header=BB4_21 Depth=1
	s_or_b32 exec_lo, exec_lo, s23
	;;#ASMSTART
	s_wakeup
	;;#ASMEND
.LBB4_52:                               ;   in Loop: Header=BB4_21 Depth=1
	s_or_b32 exec_lo, exec_lo, s22
.LBB4_53:                               ;   in Loop: Header=BB4_21 Depth=1
	s_andn2_saveexec_b32 s12, s12
	s_cbranch_execz .LBB4_55
; %bb.54:                               ;   in Loop: Header=BB4_21 Depth=1
	s_waitcnt vmcnt(0) lgkmcnt(0)
	s_waitcnt_vscnt null, 0x0
	buffer_gl1_inv
	buffer_gl0_inv
	s_barrier
.LBB4_55:                               ;   in Loop: Header=BB4_21 Depth=1
	s_or_b32 exec_lo, exec_lo, s12
.LBB4_56:                               ;   in Loop: Header=BB4_21 Depth=1
	s_or_b32 exec_lo, exec_lo, s11
	v_sub_nc_u32_e32 v45, v20, v101
	v_and_b32_e32 v71, 7, v21
	v_add_nc_u32_e32 v18, 1, v21
	v_mov_b32_e32 v70, v4
	v_cmp_lt_i32_e64 s11, 0, v45
	s_and_saveexec_b32 s22, s11
	s_cbranch_execz .LBB4_64
; %bb.57:                               ;   in Loop: Header=BB4_21 Depth=1
	s_waitcnt vmcnt(0) lgkmcnt(0)
	v_ashrrev_i32_e32 v17, 31, v19
	v_mul_lo_u32 v82, v71, s18
	v_mad_u64_u32 v[80:81], null, v98, v19, v[5:6]
	v_mul_lo_u32 v20, v99, v19
	v_mul_lo_u32 v17, v98, v17
	v_mov_b32_e32 v85, v45
	v_mov_b32_e32 v70, v4
	s_mov_b32 s23, 0
	v_ashrrev_i32_e32 v83, 31, v82
	v_add3_u32 v81, v20, v81, v17
	v_mul_lo_u32 v17, v98, v19
	v_lshlrev_b64 v[19:20], 4, v[82:83]
	v_add_co_u32 v82, vcc_lo, v116, v19
	v_add_lshl_u32 v84, v5, v17, 3
	v_add_co_ci_u32_e64 v83, null, v117, v20, vcc_lo
	s_inst_prefetch 0x1
	s_branch .LBB4_59
	.p2align	6
.LBB4_58:                               ;   in Loop: Header=BB4_59 Depth=2
	s_or_b32 exec_lo, exec_lo, s12
	s_waitcnt vmcnt(0)
	v_alignbit_b32 v17, v87, v17, v84
	v_alignbit_b32 v19, v86, v87, v84
	v_mov_b32_e32 v20, v18
	v_sub_nc_u32_e32 v85, v85, v102
	v_add_co_u32 v80, vcc_lo, v80, v102
	v_add_co_ci_u32_e64 v81, null, 0, v81, vcc_lo
	global_store_dwordx4 v[82:83], v[17:20], off
	v_cmp_gt_i32_e32 vcc_lo, 1, v85
	v_add_co_u32 v82, s12, v82, v9
	v_add_nc_u32_e32 v70, v70, v1
	v_add_nc_u32_e32 v84, v84, v115
	v_add_co_ci_u32_e64 v83, null, v83, v10, s12
	s_or_b32 s23, vcc_lo, s23
	s_andn2_b32 exec_lo, exec_lo, s23
	s_cbranch_execz .LBB4_63
.LBB4_59:                               ;   Parent Loop BB4_21 Depth=1
                                        ; =>  This Inner Loop Header: Depth=2
	v_and_b32_e32 v19, -4, v80
	v_mov_b32_e32 v20, v81
	v_min_u32_e32 v52, 8, v85
	v_and_b32_e32 v86, 3, v80
	v_mov_b32_e32 v87, 0
	s_mov_b32 s12, exec_lo
	global_load_dword v17, v[19:20], off slc
	v_add_nc_u32_e32 v52, v86, v52
	v_mov_b32_e32 v86, 0
	v_cmpx_lt_u32_e32 4, v52
	s_cbranch_execz .LBB4_61
; %bb.60:                               ;   in Loop: Header=BB4_59 Depth=2
	global_load_dword v87, v[19:20], off offset:4 slc
.LBB4_61:                               ;   in Loop: Header=BB4_59 Depth=2
	s_or_b32 exec_lo, exec_lo, s12
	s_mov_b32 s12, exec_lo
	v_cmpx_lt_u64_e32 8, v[52:53]
	s_cbranch_execz .LBB4_58
; %bb.62:                               ;   in Loop: Header=BB4_59 Depth=2
	global_load_dword v86, v[19:20], off offset:8 slc
	s_branch .LBB4_58
.LBB4_63:                               ;   in Loop: Header=BB4_21 Depth=1
	s_inst_prefetch 0x2
	s_or_b32 exec_lo, exec_lo, s23
.LBB4_64:                               ;   in Loop: Header=BB4_21 Depth=1
	s_or_b32 exec_lo, exec_lo, s22
	v_and_b32_e32 v52, 0x7ffffff8, v21
	v_cmp_gt_i32_e64 s12, s18, v70
	v_cmp_eq_u64_e32 vcc_lo, 0x7ffffff8, v[52:53]
	s_and_b32 s12, vcc_lo, s12
	s_and_saveexec_b32 s22, s12
	s_cbranch_execz .LBB4_67
; %bb.65:                               ;   in Loop: Header=BB4_21 Depth=1
	s_waitcnt vmcnt(0) lgkmcnt(0)
	v_mul_lo_u32 v19, v71, s18
	v_ashrrev_i32_e32 v71, 31, v70
	v_mov_b32_e32 v17, v53
	s_mov_b32 s23, 0
	v_lshlrev_b64 v[80:81], 4, v[70:71]
	v_ashrrev_i32_e32 v20, 31, v19
	v_lshlrev_b64 v[19:20], 4, v[19:20]
	v_add_co_u32 v19, vcc_lo, v80, v19
	v_add_co_ci_u32_e64 v20, null, v81, v20, vcc_lo
	v_add_co_u32 v80, vcc_lo, v36, v19
	v_add_co_ci_u32_e64 v81, null, v37, v20, vcc_lo
.LBB4_66:                               ;   Parent Loop BB4_21 Depth=1
                                        ; =>  This Inner Loop Header: Depth=2
	v_mov_b32_e32 v19, v17
	v_add_nc_u32_e32 v70, v70, v1
	v_mov_b32_e32 v20, v18
	v_cmp_le_i32_e32 vcc_lo, s18, v70
	global_store_dwordx4 v[80:81], v[17:20], off
	v_add_co_u32 v80, s12, v80, v9
	v_add_co_ci_u32_e64 v81, null, v81, v10, s12
	s_or_b32 s23, vcc_lo, s23
	s_andn2_b32 exec_lo, exec_lo, s23
	s_cbranch_execnz .LBB4_66
.LBB4_67:                               ;   in Loop: Header=BB4_21 Depth=1
	s_or_b32 exec_lo, exec_lo, s22
	v_add_co_u32 v47, vcc_lo, v68, v25
	v_add_co_ci_u32_e64 v56, null, v69, v26, vcc_lo
	v_add_co_u32 v70, vcc_lo, v21, 1
	v_add_co_ci_u32_e64 v71, null, 0, v22, vcc_lo
	s_andn2_b32 vcc_lo, exec_lo, s21
	s_cbranch_vccnz .LBB4_501
; %bb.68:                               ;   in Loop: Header=BB4_21 Depth=1
	v_add_co_u32 v80, vcc_lo, v103, v47
	v_add_co_ci_u32_e64 v81, null, v112, v56, vcc_lo
	v_add_nc_u16 v57, v21, 1
	s_mov_b32 s22, 2
	s_branch .LBB4_70
.LBB4_69:                               ;   in Loop: Header=BB4_70 Depth=2
	s_or_b32 exec_lo, exec_lo, s23
	v_add_co_u32 v34, vcc_lo, v34, 1
	v_add_co_ci_u32_e64 v35, null, 0, v35, vcc_lo
	v_add_co_u32 v70, vcc_lo, v70, 1
	v_add_co_ci_u32_e64 v71, null, 0, v71, vcc_lo
	v_add_nc_u16 v57, v57, 1
	s_add_i32 s22, s22, 1
	s_cmp_eq_u32 s22, s14
	s_cbranch_scc1 .LBB4_501
.LBB4_70:                               ;   Parent Loop BB4_21 Depth=1
                                        ; =>  This Loop Header: Depth=2
                                        ;       Child Loop BB4_75 Depth 3
                                        ;       Child Loop BB4_94 Depth 3
	;; [unrolled: 1-line block ×3, first 2 shown]
                                        ;         Child Loop BB4_118 Depth 4
                                        ;       Child Loop BB4_484 Depth 3
                                        ;       Child Loop BB4_493 Depth 3
	s_sub_i32 s12, s14, s22
	s_lshl_b64 s[24:25], s[12:13], 2
	v_add_co_u32 v17, vcc_lo, v23, s24
	v_add_co_ci_u32_e64 v18, null, s25, v24, vcc_lo
	s_waitcnt vmcnt(0) lgkmcnt(0)
	flat_load_dword v19, v[17:18]
	s_and_saveexec_b32 s23, s5
	s_cbranch_execz .LBB4_86
; %bb.71:                               ;   in Loop: Header=BB4_70 Depth=2
	v_add_co_u32 v17, vcc_lo, v15, 1
	v_add_co_ci_u32_e64 v18, null, 0, v16, vcc_lo
	v_add_co_u32 v20, vcc_lo, v54, 8
	v_add_co_ci_u32_e64 v21, null, 0, v55, vcc_lo
	s_mov_b32 s24, exec_lo
	v_cmpx_lt_u64_e64 v[20:21], v[17:18]
	s_cbranch_execz .LBB4_83
; %bb.72:                               ;   in Loop: Header=BB4_70 Depth=2
	s_mov_b32 s25, 0
	s_mov_b32 s29, 0
	v_cmp_eq_u32_e32 vcc_lo, 0, v44
                                        ; implicit-def: $sgpr26
                                        ; implicit-def: $sgpr27
                                        ; implicit-def: $sgpr28
	s_branch .LBB4_75
.LBB4_73:                               ;   in Loop: Header=BB4_75 Depth=3
	s_or_b32 exec_lo, exec_lo, s44
	s_andn2_b32 s12, s28, exec_lo
	s_and_b32 s28, s42, exec_lo
	s_andn2_b32 s27, s27, exec_lo
	s_and_b32 s41, s41, exec_lo
	s_or_b32 s28, s12, s28
	s_or_b32 s27, s27, s41
.LBB4_74:                               ;   in Loop: Header=BB4_75 Depth=3
	s_or_b32 exec_lo, exec_lo, s40
	s_and_b32 s12, exec_lo, s27
	s_or_b32 s25, s12, s25
	s_andn2_b32 s12, s26, exec_lo
	s_and_b32 s26, s28, exec_lo
	s_or_b32 s26, s12, s26
	s_andn2_b32 exec_lo, exec_lo, s25
	s_cbranch_execz .LBB4_80
.LBB4_75:                               ;   Parent Loop BB4_21 Depth=1
                                        ;     Parent Loop BB4_70 Depth=2
                                        ; =>    This Inner Loop Header: Depth=3
	s_sleep 1
	s_waitcnt vmcnt(0) lgkmcnt(0)
	flat_load_dwordx2 v[54:55], v[50:51] glc dlc
	v_mov_b32_e32 v44, 1
	s_or_b32 s28, s28, exec_lo
	s_or_b32 s27, s27, exec_lo
                                        ; implicit-def: $vgpr16
	s_and_saveexec_b32 s40, vcc_lo
	s_cbranch_execz .LBB4_74
; %bb.76:                               ;   in Loop: Header=BB4_75 Depth=3
	s_add_i32 s29, s29, 1
	s_mov_b32 s41, -1
	s_cmpk_lg_i32 s29, 0x2710
	s_mov_b32 s42, -1
	s_cselect_b32 s43, -1, 0
	s_cmpk_eq_i32 s29, 0x2710
                                        ; implicit-def: $vgpr16
	s_cbranch_scc1 .LBB4_78
; %bb.77:                               ;   in Loop: Header=BB4_75 Depth=3
	v_mov_b32_e32 v44, 1
	s_and_saveexec_b32 s44, s43
	s_cbranch_execz .LBB4_73
	s_branch .LBB4_79
.LBB4_78:                               ;   in Loop: Header=BB4_75 Depth=3
	s_trap 2
	ds_read_b64 v[20:21], v0
	s_andn2_b32 s29, s43, exec_lo
	s_mov_b32 s42, 0
	s_waitcnt vmcnt(0) lgkmcnt(0)
	s_waitcnt_vscnt null, 0x0
	flat_load_dword v16, v[20:21] glc dlc
	s_waitcnt vmcnt(0) lgkmcnt(0)
	buffer_gl1_inv
	buffer_gl0_inv
	v_cmp_eq_u32_e64 s12, 0, v16
	s_and_b32 s12, s12, exec_lo
	s_or_b32 s43, s29, s12
	s_mov_b32 s29, 0
	v_mov_b32_e32 v44, 1
	s_and_saveexec_b32 s44, s43
	s_cbranch_execz .LBB4_73
.LBB4_79:                               ;   in Loop: Header=BB4_75 Depth=3
	s_waitcnt vmcnt(0) lgkmcnt(0)
	v_add_co_u32 v20, s12, v54, 8
	v_add_co_ci_u32_e64 v21, null, 0, v55, s12
	v_mov_b32_e32 v44, 0
	s_or_b32 s42, s42, exec_lo
	v_cmp_ge_u64_e64 s12, v[20:21], v[17:18]
	s_orn2_b32 s41, s12, exec_lo
	s_branch .LBB4_73
.LBB4_80:                               ;   in Loop: Header=BB4_70 Depth=2
	s_or_b32 exec_lo, exec_lo, s25
	s_xor_b32 s12, s26, -1
	s_and_saveexec_b32 s25, s12
	s_xor_b32 s12, exec_lo, s25
	s_cbranch_execz .LBB4_82
; %bb.81:                               ;   in Loop: Header=BB4_70 Depth=2
	v_mov_b32_e32 v44, 1
	s_waitcnt vmcnt(0) lgkmcnt(0)
	s_waitcnt_vscnt null, 0x0
	ds_write_b32 v0, v16
	s_trap 2
.LBB4_82:                               ;   in Loop: Header=BB4_70 Depth=2
	s_or_b32 exec_lo, exec_lo, s12
.LBB4_83:                               ;   in Loop: Header=BB4_70 Depth=2
	s_or_b32 exec_lo, exec_lo, s24
	s_and_saveexec_b32 s12, s6
	s_cbranch_execz .LBB4_85
; %bb.84:                               ;   in Loop: Header=BB4_70 Depth=2
	v_and_b32_e32 v52, 0x7ffffff8, v15
	v_and_b32_e32 v16, 7, v15
	v_cmp_eq_u64_e32 vcc_lo, 0x7ffffff8, v[52:53]
	v_mad_u64_u32 v[20:21], null, v16, 24, v[13:14]
	v_cndmask_b32_e64 v15, v46, s15, vcc_lo
	v_ashrrev_i32_e32 v16, 31, v15
	flat_store_dwordx2 v[20:21], v[15:16] offset:8
	s_waitcnt_vscnt null, 0x0
.LBB4_85:                               ;   in Loop: Header=BB4_70 Depth=2
	s_or_b32 exec_lo, exec_lo, s12
	v_mov_b32_e32 v15, v17
	v_mov_b32_e32 v16, v18
.LBB4_86:                               ;   in Loop: Header=BB4_70 Depth=2
	s_or_b32 exec_lo, exec_lo, s23
	s_and_saveexec_b32 s12, s7
	s_cbranch_execz .LBB4_105
; %bb.87:                               ;   in Loop: Header=BB4_70 Depth=2
	s_and_saveexec_b32 s23, s19
	s_xor_b32 s23, exec_lo, s23
	s_cbranch_execz .LBB4_102
; %bb.88:                               ;   in Loop: Header=BB4_70 Depth=2
	s_and_saveexec_b32 s24, s8
	s_cbranch_execz .LBB4_101
; %bb.89:                               ;   in Loop: Header=BB4_70 Depth=2
	s_mov_b32 s26, exec_lo
	s_mov_b32 s25, exec_lo
	v_mbcnt_lo_u32_b32 v17, s26, 0
	s_waitcnt vmcnt(0) lgkmcnt(0)
	s_waitcnt_vscnt null, 0x0
	buffer_gl1_inv
	buffer_gl0_inv
	v_cmpx_eq_u32_e32 0, v17
	s_cbranch_execz .LBB4_91
; %bb.90:                               ;   in Loop: Header=BB4_70 Depth=2
	s_bcnt1_i32_b32 s26, s26
	v_mov_b32_e32 v52, s26
	ds_add_u64 v0, v[52:53]
	s_trap 2
.LBB4_91:                               ;   in Loop: Header=BB4_70 Depth=2
	s_or_b32 exec_lo, exec_lo, s25
	s_trap 2
	ds_read_b64 v[17:18], v0
	s_waitcnt lgkmcnt(0)
	buffer_gl0_inv
	v_add_co_u32 v2, vcc_lo, v2, v100
	v_add_co_ci_u32_e64 v3, null, 0, v3, vcc_lo
	s_mov_b32 s25, exec_lo
	v_cmpx_lt_u64_e64 v[17:18], v[2:3]
	s_cbranch_execz .LBB4_100
; %bb.92:                               ;   in Loop: Header=BB4_70 Depth=2
	s_mov_b32 s26, 0
	s_mov_b32 s29, 0
                                        ; implicit-def: $sgpr27
                                        ; implicit-def: $sgpr28
	s_inst_prefetch 0x1
	s_branch .LBB4_94
	.p2align	6
.LBB4_93:                               ;   in Loop: Header=BB4_94 Depth=3
	s_or_b32 exec_lo, exec_lo, s41
	s_and_b32 s40, exec_lo, s42
	s_or_b32 s26, s40, s26
	s_andn2_b32 s27, s27, exec_lo
	s_and_b32 s40, s28, exec_lo
	s_or_b32 s27, s27, s40
	s_andn2_b32 exec_lo, exec_lo, s26
	s_cbranch_execz .LBB4_98
.LBB4_94:                               ;   Parent Loop BB4_21 Depth=1
                                        ;     Parent Loop BB4_70 Depth=2
                                        ; =>    This Inner Loop Header: Depth=3
	s_add_i32 s29, s29, 1
	s_cmpk_lg_i32 s29, 0x2710
	s_cselect_b32 s40, -1, 0
	s_and_b32 vcc_lo, exec_lo, s40
	s_cbranch_vccz .LBB4_96
; %bb.95:                               ;   in Loop: Header=BB4_94 Depth=3
	s_mov_b32 s42, -1
	s_or_b32 s28, s28, exec_lo
	s_and_saveexec_b32 s41, s40
	s_cbranch_execz .LBB4_93
	s_branch .LBB4_97
	.p2align	6
.LBB4_96:                               ;   in Loop: Header=BB4_94 Depth=3
	s_trap 2
	ds_read_b64 v[17:18], v0
	s_andn2_b32 s40, s40, exec_lo
	s_mov_b32 s29, 0
	s_waitcnt lgkmcnt(0)
	flat_load_dword v17, v[17:18] glc dlc
	s_waitcnt vmcnt(0) lgkmcnt(0)
	buffer_gl1_inv
	buffer_gl0_inv
	v_cmp_eq_u32_e32 vcc_lo, 0, v17
	s_and_b32 s41, vcc_lo, exec_lo
	s_or_b32 s40, s40, s41
	s_mov_b32 s42, -1
	s_or_b32 s28, s28, exec_lo
	s_and_saveexec_b32 s41, s40
	s_cbranch_execz .LBB4_93
.LBB4_97:                               ;   in Loop: Header=BB4_94 Depth=3
	s_sleep 1
	s_trap 2
	ds_read_b64 v[17:18], v0
	s_waitcnt lgkmcnt(0)
	buffer_gl0_inv
	s_andn2_b32 s28, s28, exec_lo
	v_cmp_ge_u64_e32 vcc_lo, v[17:18], v[2:3]
	s_orn2_b32 s42, vcc_lo, exec_lo
	s_branch .LBB4_93
.LBB4_98:                               ;   in Loop: Header=BB4_70 Depth=2
	s_inst_prefetch 0x2
	s_or_b32 exec_lo, exec_lo, s26
	s_and_saveexec_b32 s26, s27
	s_xor_b32 s26, exec_lo, s26
	s_cbranch_execz .LBB4_100
; %bb.99:                               ;   in Loop: Header=BB4_70 Depth=2
	ds_write_b32 v0, v118
	s_trap 2
.LBB4_100:                              ;   in Loop: Header=BB4_70 Depth=2
	s_or_b32 exec_lo, exec_lo, s25
	;;#ASMSTART
	s_wakeup
	;;#ASMEND
.LBB4_101:                              ;   in Loop: Header=BB4_70 Depth=2
	s_or_b32 exec_lo, exec_lo, s24
.LBB4_102:                              ;   in Loop: Header=BB4_70 Depth=2
	s_andn2_saveexec_b32 s23, s23
	s_cbranch_execz .LBB4_104
; %bb.103:                              ;   in Loop: Header=BB4_70 Depth=2
	s_waitcnt vmcnt(0) lgkmcnt(0)
	s_waitcnt_vscnt null, 0x0
	buffer_gl1_inv
	buffer_gl0_inv
	s_barrier
.LBB4_104:                              ;   in Loop: Header=BB4_70 Depth=2
	s_or_b32 exec_lo, exec_lo, s23
.LBB4_105:                              ;   in Loop: Header=BB4_70 Depth=2
	s_or_b32 exec_lo, exec_lo, s12
	v_add_nc_u32_e32 v18, 1, v70
	v_mov_b32_e32 v82, v4
	s_and_saveexec_b32 s23, s11
	s_cbranch_execz .LBB4_476
; %bb.106:                              ;   in Loop: Header=BB4_70 Depth=2
	v_and_b32_e32 v17, 7, v34
	v_and_b32_e32 v21, 7, v70
	s_waitcnt vmcnt(0) lgkmcnt(0)
	v_mad_u64_u32 v[84:85], null, v98, v19, v[80:81]
	v_mul_lo_u32 v22, v99, v19
	v_mul_lo_u32 v20, v17, s18
	v_ashrrev_i32_e32 v17, 31, v19
	v_mul_lo_u32 v82, v21, s18
	v_add_nc_u32_e32 v58, 1, v34
	v_mov_b32_e32 v59, v45
	s_mov_b32 s24, 0
	v_mul_lo_u32 v17, v98, v17
	v_ashrrev_i32_e32 v21, 31, v20
	v_ashrrev_i32_e32 v83, 31, v82
	v_lshlrev_b64 v[19:20], 4, v[20:21]
	v_add3_u32 v85, v22, v85, v17
	v_lshlrev_b64 v[21:22], 4, v[82:83]
	v_mov_b32_e32 v82, v4
	v_add_co_u32 v60, vcc_lo, v32, v19
	v_add_co_ci_u32_e64 v61, null, v33, v20, vcc_lo
	v_add_co_u32 v62, vcc_lo, v36, v21
	v_add_co_ci_u32_e64 v63, null, v37, v22, vcc_lo
	s_branch .LBB4_110
.LBB4_107:                              ;   in Loop: Header=BB4_110 Depth=3
	s_or_b32 exec_lo, exec_lo, s12
	v_lshrrev_b32_e32 v22, 21, v22
	v_min_i32_e32 v83, 31, v21
	v_cmp_gt_i32_e32 vcc_lo, 32, v21
	v_and_b32_sdwa v73, v73, v40 dst_sel:DWORD dst_unused:UNUSED_PAD src0_sel:BYTE_3 src1_sel:DWORD
	v_lshlrev_b32_e32 v83, 2, v83
	v_cndmask_b32_e32 v22, 3, v22, vcc_lo
	v_and_b32_e32 v83, 0xfc, v83
	v_and_b32_e32 v74, 3, v22
	v_or_b32_e32 v21, v21, v22
	v_or3_b32 v83, v73, v83, v74
	v_cmp_ne_u32_e32 vcc_lo, 0, v21
	v_lshlrev_b32_e32 v22, 8, v83
	v_cndmask_b32_e32 v21, 0, v22, vcc_lo
.LBB4_108:                              ;   in Loop: Header=BB4_110 Depth=3
	s_or_b32 exec_lo, exec_lo, s26
.LBB4_109:                              ;   in Loop: Header=BB4_110 Depth=3
	s_or_b32 exec_lo, exec_lo, s25
	v_sub_nc_u32_e32 v59, v59, v102
	v_add_co_u32 v84, vcc_lo, v84, v102
	v_or_b32_e32 v17, v20, v17
	v_or_b32_sdwa v19, v19, v52 dst_sel:WORD_1 dst_unused:UNUSED_PAD src0_sel:DWORD src1_sel:DWORD
	v_or_b32_e32 v20, v97, v96
	v_or_b32_sdwa v52, v21, v72 dst_sel:WORD_1 dst_unused:UNUSED_PAD src0_sel:DWORD src1_sel:DWORD
	v_add_co_ci_u32_e64 v85, null, 0, v85, vcc_lo
	v_add_co_u32 v21, vcc_lo, v62, v86
	v_add_co_ci_u32_e64 v22, null, v63, v87, vcc_lo
	v_cmp_gt_i32_e32 vcc_lo, 1, v59
	v_or3_b32 v17, v17, v19, 0
	v_or3_b32 v19, v20, v52, 0
	v_mov_b32_e32 v20, v18
	v_add_nc_u32_e32 v82, v82, v1
	s_or_b32 s24, vcc_lo, s24
	global_store_dwordx4 v[21:22], v[17:20], off
	s_andn2_b32 exec_lo, exec_lo, s24
	s_cbranch_execz .LBB4_488
.LBB4_110:                              ;   Parent Loop BB4_21 Depth=1
                                        ;     Parent Loop BB4_70 Depth=2
                                        ; =>    This Loop Header: Depth=3
                                        ;         Child Loop BB4_118 Depth 4
	v_and_b32_e32 v19, -4, v84
	v_mov_b32_e32 v20, v85
	v_min_u32_e32 v21, 8, v59
	v_and_b32_e32 v22, 3, v84
	v_mov_b32_e32 v72, 0
	v_mov_b32_e32 v73, 0
	global_load_dword v17, v[19:20], off slc
	s_mov_b32 s12, exec_lo
	v_add_nc_u32_e32 v52, v22, v21
	v_cmpx_lt_u32_e32 4, v52
	s_cbranch_execz .LBB4_112
; %bb.111:                              ;   in Loop: Header=BB4_110 Depth=3
	global_load_dword v73, v[19:20], off offset:4 slc
.LBB4_112:                              ;   in Loop: Header=BB4_110 Depth=3
	s_or_b32 exec_lo, exec_lo, s12
	s_mov_b32 s12, exec_lo
	v_cmpx_lt_u64_e32 8, v[52:53]
	s_cbranch_execz .LBB4_114
; %bb.113:                              ;   in Loop: Header=BB4_110 Depth=3
	global_load_dword v72, v[19:20], off offset:8 slc
.LBB4_114:                              ;   in Loop: Header=BB4_110 Depth=3
	s_or_b32 exec_lo, exec_lo, s12
	v_mov_b32_e32 v83, v53
	v_lshlrev_b64 v[86:87], 4, v[82:83]
	v_add_co_u32 v96, vcc_lo, v60, v86
	v_add_co_ci_u32_e64 v97, null, v61, v87, vcc_lo
	v_cmp_eq_u32_e32 vcc_lo, 0, v44
	v_mov_b32_e32 v44, 1
	global_load_dwordx4 v[19:22], v[96:97], off slc
	s_and_saveexec_b32 s25, vcc_lo
	s_cbranch_execz .LBB4_126
; %bb.115:                              ;   in Loop: Header=BB4_110 Depth=3
	s_waitcnt vmcnt(0)
	v_cmp_ne_u32_e32 vcc_lo, v58, v20
	v_cmp_ne_u32_e64 s12, v58, v22
	v_mov_b32_e32 v44, 0
	s_or_b32 s12, vcc_lo, s12
	s_and_saveexec_b32 s26, s12
	s_cbranch_execz .LBB4_125
; %bb.116:                              ;   in Loop: Header=BB4_110 Depth=3
	s_mov_b32 s40, 1
	s_mov_b32 s28, 0
                                        ; implicit-def: $sgpr27
                                        ; implicit-def: $sgpr29
	s_inst_prefetch 0x1
	s_branch .LBB4_118
	.p2align	6
.LBB4_117:                              ;   in Loop: Header=BB4_118 Depth=4
	s_or_b32 exec_lo, exec_lo, s42
	s_and_b32 s12, exec_lo, s12
	s_or_b32 s28, s12, s28
	s_andn2_b32 s12, s27, exec_lo
	s_and_b32 s27, s29, exec_lo
	s_or_b32 s27, s12, s27
	s_andn2_b32 exec_lo, exec_lo, s28
	s_cbranch_execz .LBB4_122
.LBB4_118:                              ;   Parent Loop BB4_21 Depth=1
                                        ;     Parent Loop BB4_70 Depth=2
                                        ;       Parent Loop BB4_110 Depth=3
                                        ; =>      This Inner Loop Header: Depth=4
	global_load_dwordx4 v[19:22], v[96:97], off slc
	s_add_i32 s40, s40, 1
	s_mov_b32 s12, -1
	s_cmpk_lg_i32 s40, 0x2710
	s_mov_b32 s41, -1
                                        ; implicit-def: $vgpr52
	s_cbranch_scc0 .LBB4_120
; %bb.119:                              ;   in Loop: Header=BB4_118 Depth=4
	s_or_b32 s29, s29, exec_lo
	s_and_saveexec_b32 s42, s41
	s_cbranch_execz .LBB4_117
	s_branch .LBB4_121
	.p2align	6
.LBB4_120:                              ;   in Loop: Header=BB4_118 Depth=4
	s_trap 2
	ds_read_b64 v[74:75], v0
	s_mov_b32 s40, 0
	s_waitcnt vmcnt(0) lgkmcnt(0)
	s_waitcnt_vscnt null, 0x0
	flat_load_dword v52, v[74:75] glc dlc
	s_waitcnt vmcnt(0) lgkmcnt(0)
	buffer_gl1_inv
	buffer_gl0_inv
	v_cmp_eq_u32_e32 vcc_lo, 0, v52
	s_orn2_b32 s41, vcc_lo, exec_lo
	s_or_b32 s29, s29, exec_lo
	s_and_saveexec_b32 s42, s41
	s_cbranch_execz .LBB4_117
.LBB4_121:                              ;   in Loop: Header=BB4_118 Depth=4
	s_waitcnt vmcnt(0)
	v_cmp_eq_u32_e32 vcc_lo, v58, v20
	v_cmp_eq_u32_e64 s12, v58, v22
	s_andn2_b32 s29, s29, exec_lo
	s_and_b32 s12, vcc_lo, s12
	s_orn2_b32 s12, s12, exec_lo
	s_branch .LBB4_117
.LBB4_122:                              ;   in Loop: Header=BB4_110 Depth=3
	s_inst_prefetch 0x2
	s_or_b32 exec_lo, exec_lo, s28
	v_mov_b32_e32 v44, 0
	s_and_saveexec_b32 s12, s27
	s_xor_b32 s12, exec_lo, s12
	s_cbranch_execz .LBB4_124
; %bb.123:                              ;   in Loop: Header=BB4_110 Depth=3
	v_mov_b32_e32 v44, 1
	s_waitcnt vmcnt(0)
	s_waitcnt_vscnt null, 0x0
	ds_write_b32 v0, v52
	s_trap 2
.LBB4_124:                              ;   in Loop: Header=BB4_110 Depth=3
	s_or_b32 exec_lo, exec_lo, s12
.LBB4_125:                              ;   in Loop: Header=BB4_110 Depth=3
	s_or_b32 exec_lo, exec_lo, s26
.LBB4_126:                              ;   in Loop: Header=BB4_110 Depth=3
	s_or_b32 exec_lo, exec_lo, s25
	s_waitcnt vmcnt(0)
	v_lshlrev_b32_e32 v22, 3, v84
                                        ; implicit-def: $vgpr20
	v_alignbit_b32 v83, v73, v17, v22
	s_and_saveexec_b32 s12, s9
	s_xor_b32 s12, exec_lo, s12
	s_cbranch_execz .LBB4_140
; %bb.127:                              ;   in Loop: Header=BB4_110 Depth=3
	v_cmp_gt_i16_sdwa s26, v19, v119 src0_sel:BYTE_0 src1_sel:DWORD
	s_mov_b32 s25, 0
	s_and_saveexec_b32 s27, s26
	s_xor_b32 s26, exec_lo, s27
	s_cbranch_execz .LBB4_412
; %bb.128:                              ;   in Loop: Header=BB4_110 Depth=3
	v_cmp_eq_u16_sdwa s28, v19, v40 src0_sel:BYTE_0 src1_sel:DWORD
	s_mov_b32 s25, -1
	s_and_saveexec_b32 s27, s28
; %bb.129:                              ;   in Loop: Header=BB4_110 Depth=3
	s_xor_b32 s25, exec_lo, -1
; %bb.130:                              ;   in Loop: Header=BB4_110 Depth=3
	s_or_b32 exec_lo, exec_lo, s27
	s_and_b32 s25, s25, exec_lo
	s_or_saveexec_b32 s26, s26
	v_mov_b32_e32 v17, 0x7f800001
	s_xor_b32 exec_lo, exec_lo, s26
	s_cbranch_execnz .LBB4_413
.LBB4_131:                              ;   in Loop: Header=BB4_110 Depth=3
	s_or_b32 exec_lo, exec_lo, s26
	s_and_saveexec_b32 s26, s25
	s_cbranch_execz .LBB4_133
.LBB4_132:                              ;   in Loop: Header=BB4_110 Depth=3
	v_and_b32_e32 v17, 3, v19
	v_bfe_u32 v96, v19, 2, 5
	v_lshlrev_b32_e32 v97, 24, v19
	v_ffbh_u32_e32 v20, v17
	v_cmp_eq_u32_e32 vcc_lo, 0, v96
	v_min_u32_e32 v20, 32, v20
	v_subrev_nc_u32_e32 v52, 29, v20
	v_sub_nc_u32_e32 v20, 30, v20
	v_lshlrev_b32_e32 v52, v52, v19
	v_cndmask_b32_e32 v20, v96, v20, vcc_lo
	v_and_b32_e32 v52, 3, v52
	v_lshl_add_u32 v20, v20, 23, 0x37800000
	v_cndmask_b32_e32 v17, v17, v52, vcc_lo
	v_and_b32_e32 v52, 0x80000000, v97
	v_lshlrev_b32_e32 v17, 21, v17
	v_or3_b32 v17, v52, v20, v17
.LBB4_133:                              ;   in Loop: Header=BB4_110 Depth=3
	s_or_b32 exec_lo, exec_lo, s26
	v_cmp_gt_i16_sdwa s26, v83, v119 src0_sel:BYTE_0 src1_sel:DWORD
	s_mov_b32 s25, 0
	s_and_saveexec_b32 s27, s26
	s_xor_b32 s26, exec_lo, s27
	s_cbranch_execz .LBB4_414
; %bb.134:                              ;   in Loop: Header=BB4_110 Depth=3
	v_cmp_eq_u16_sdwa s28, v83, v40 src0_sel:BYTE_0 src1_sel:DWORD
	s_mov_b32 s25, -1
	s_and_saveexec_b32 s27, s28
; %bb.135:                              ;   in Loop: Header=BB4_110 Depth=3
	s_xor_b32 s25, exec_lo, -1
; %bb.136:                              ;   in Loop: Header=BB4_110 Depth=3
	s_or_b32 exec_lo, exec_lo, s27
	s_and_b32 s25, s25, exec_lo
	s_or_saveexec_b32 s26, s26
	v_mov_b32_e32 v20, 0x7f800001
	s_xor_b32 exec_lo, exec_lo, s26
	s_cbranch_execnz .LBB4_415
.LBB4_137:                              ;   in Loop: Header=BB4_110 Depth=3
	s_or_b32 exec_lo, exec_lo, s26
	s_and_saveexec_b32 s26, s25
	s_cbranch_execz .LBB4_139
.LBB4_138:                              ;   in Loop: Header=BB4_110 Depth=3
	v_and_b32_e32 v20, 3, v83
	v_bfe_u32 v97, v83, 2, 5
	v_lshlrev_b32_e32 v74, 24, v83
	v_ffbh_u32_e32 v52, v20
	v_cmp_eq_u32_e32 vcc_lo, 0, v97
	v_min_u32_e32 v52, 32, v52
	v_subrev_nc_u32_e32 v96, 29, v52
	v_sub_nc_u32_e32 v52, 30, v52
	v_lshlrev_b32_e32 v96, v96, v83
	v_cndmask_b32_e32 v52, v97, v52, vcc_lo
	v_and_b32_e32 v96, 3, v96
	v_lshl_add_u32 v52, v52, 23, 0x37800000
	v_cndmask_b32_e32 v20, v20, v96, vcc_lo
	v_and_b32_e32 v96, 0x80000000, v74
	v_lshlrev_b32_e32 v20, 21, v20
	v_or3_b32 v20, v96, v52, v20
.LBB4_139:                              ;   in Loop: Header=BB4_110 Depth=3
	s_or_b32 exec_lo, exec_lo, s26
	v_max_f32_e32 v20, v20, v20
	v_max_f32_e32 v17, v17, v17
	v_max_f32_e32 v20, v17, v20
.LBB4_140:                              ;   in Loop: Header=BB4_110 Depth=3
	s_andn2_saveexec_b32 s12, s12
	s_cbranch_execz .LBB4_154
; %bb.141:                              ;   in Loop: Header=BB4_110 Depth=3
	v_cmp_gt_i16_sdwa s26, v19, v119 src0_sel:BYTE_0 src1_sel:DWORD
	s_mov_b32 s25, 0
	s_and_saveexec_b32 s27, s26
	s_xor_b32 s26, exec_lo, s27
	s_cbranch_execz .LBB4_416
; %bb.142:                              ;   in Loop: Header=BB4_110 Depth=3
	v_cmp_eq_u16_sdwa s28, v19, v40 src0_sel:BYTE_0 src1_sel:DWORD
	s_mov_b32 s25, -1
	s_and_saveexec_b32 s27, s28
; %bb.143:                              ;   in Loop: Header=BB4_110 Depth=3
	s_xor_b32 s25, exec_lo, -1
; %bb.144:                              ;   in Loop: Header=BB4_110 Depth=3
	s_or_b32 exec_lo, exec_lo, s27
	s_and_b32 s25, s25, exec_lo
	s_or_saveexec_b32 s26, s26
	v_mov_b32_e32 v17, 0x7f800001
	s_xor_b32 exec_lo, exec_lo, s26
	s_cbranch_execnz .LBB4_417
.LBB4_145:                              ;   in Loop: Header=BB4_110 Depth=3
	s_or_b32 exec_lo, exec_lo, s26
	s_and_saveexec_b32 s26, s25
	s_cbranch_execz .LBB4_147
.LBB4_146:                              ;   in Loop: Header=BB4_110 Depth=3
	v_and_b32_e32 v17, 3, v19
	v_bfe_u32 v96, v19, 2, 5
	v_lshlrev_b32_e32 v97, 24, v19
	v_ffbh_u32_e32 v20, v17
	v_cmp_eq_u32_e32 vcc_lo, 0, v96
	v_min_u32_e32 v20, 32, v20
	v_subrev_nc_u32_e32 v52, 29, v20
	v_sub_nc_u32_e32 v20, 30, v20
	v_lshlrev_b32_e32 v52, v52, v19
	v_cndmask_b32_e32 v20, v96, v20, vcc_lo
	v_and_b32_e32 v52, 3, v52
	v_lshl_add_u32 v20, v20, 23, 0x37800000
	v_cndmask_b32_e32 v17, v17, v52, vcc_lo
	v_and_b32_e32 v52, 0x80000000, v97
	v_lshlrev_b32_e32 v17, 21, v17
	v_or3_b32 v17, v52, v20, v17
.LBB4_147:                              ;   in Loop: Header=BB4_110 Depth=3
	s_or_b32 exec_lo, exec_lo, s26
	v_cmp_gt_i16_sdwa s26, v83, v119 src0_sel:BYTE_0 src1_sel:DWORD
	s_mov_b32 s25, 0
	s_and_saveexec_b32 s27, s26
	s_xor_b32 s26, exec_lo, s27
	s_cbranch_execz .LBB4_418
; %bb.148:                              ;   in Loop: Header=BB4_110 Depth=3
	v_cmp_eq_u16_sdwa s28, v83, v40 src0_sel:BYTE_0 src1_sel:DWORD
	s_mov_b32 s25, -1
	s_and_saveexec_b32 s27, s28
; %bb.149:                              ;   in Loop: Header=BB4_110 Depth=3
	s_xor_b32 s25, exec_lo, -1
; %bb.150:                              ;   in Loop: Header=BB4_110 Depth=3
	s_or_b32 exec_lo, exec_lo, s27
	s_and_b32 s25, s25, exec_lo
	s_or_saveexec_b32 s26, s26
	v_mov_b32_e32 v20, 0x7f800001
	s_xor_b32 exec_lo, exec_lo, s26
	s_cbranch_execnz .LBB4_419
.LBB4_151:                              ;   in Loop: Header=BB4_110 Depth=3
	s_or_b32 exec_lo, exec_lo, s26
	s_and_saveexec_b32 s26, s25
	s_cbranch_execz .LBB4_153
.LBB4_152:                              ;   in Loop: Header=BB4_110 Depth=3
	v_and_b32_e32 v20, 3, v83
	v_bfe_u32 v97, v83, 2, 5
	v_lshlrev_b32_e32 v74, 24, v83
	v_ffbh_u32_e32 v52, v20
	v_cmp_eq_u32_e32 vcc_lo, 0, v97
	v_min_u32_e32 v52, 32, v52
	v_subrev_nc_u32_e32 v96, 29, v52
	v_sub_nc_u32_e32 v52, 30, v52
	v_lshlrev_b32_e32 v96, v96, v83
	v_cndmask_b32_e32 v52, v97, v52, vcc_lo
	v_and_b32_e32 v96, 3, v96
	v_lshl_add_u32 v52, v52, 23, 0x37800000
	v_cndmask_b32_e32 v20, v20, v96, vcc_lo
	v_and_b32_e32 v96, 0x80000000, v74
	v_lshlrev_b32_e32 v20, 21, v20
	v_or3_b32 v20, v96, v52, v20
.LBB4_153:                              ;   in Loop: Header=BB4_110 Depth=3
	s_or_b32 exec_lo, exec_lo, s26
	v_max_f32_e32 v20, v20, v20
	v_max_f32_e32 v17, v17, v17
	v_min_f32_e32 v20, v17, v20
.LBB4_154:                              ;   in Loop: Header=BB4_110 Depth=3
	s_or_b32 exec_lo, exec_lo, s12
	v_and_b32_e32 v17, 0x7f800000, v20
	v_cmp_ne_u32_e32 vcc_lo, 0x7f800000, v17
	v_mov_b32_e32 v17, 0x80
	s_and_saveexec_b32 s25, vcc_lo
	s_cbranch_execz .LBB4_162
; %bb.155:                              ;   in Loop: Header=BB4_110 Depth=3
	v_mov_b32_e32 v17, 0
	s_mov_b32 s26, exec_lo
	v_cmpx_ne_u32_e32 0, v20
	s_cbranch_execz .LBB4_161
; %bb.156:                              ;   in Loop: Header=BB4_110 Depth=3
	v_bfe_u32 v17, v20, 23, 8
	v_and_b32_e32 v52, 0x7fffff, v20
	v_sub_nc_u32_e32 v96, 0x70, v17
	v_cmp_gt_u32_e32 vcc_lo, 0x71, v17
	v_or_b32_e32 v97, 0x800000, v52
	v_cndmask_b32_e32 v96, 0, v96, vcc_lo
	v_cmp_eq_u32_e32 vcc_lo, 0, v17
	v_add_nc_u32_e32 v17, 0xffffff91, v17
	v_cndmask_b32_e64 v96, v96, 0x6f, vcc_lo
	v_cndmask_b32_e32 v52, v97, v52, vcc_lo
	v_cndmask_b32_e64 v17, v17, 0xffffff92, vcc_lo
	v_lshl_add_u32 v97, 0x200000, v96, -1
	v_lshrrev_b32_e32 v74, v96, v52
	v_lshlrev_b32_e64 v76, v96, 0x100000
	v_add_nc_u32_e32 v96, v96, v17
	v_and_b32_e32 v52, v97, v52
	v_bfe_u32 v75, v74, 21, 1
	v_cmp_eq_u32_e64 s12, v52, v76
	v_add_nc_u32_e32 v97, -1, v75
	v_cndmask_b32_e64 v52, 0, v97, s12
	v_lshrrev_b32_e32 v97, 23, v74
	s_mov_b32 s12, exec_lo
	v_add_nc_u32_e32 v52, v52, v74
	v_xor_b32_e32 v97, 1, v97
	v_and_b32_e32 v17, 0x1fffff, v52
	v_add_nc_u32_e32 v52, v17, v74
                                        ; implicit-def: $vgpr17
	v_cmpx_ne_u32_e64 v96, v97
	s_xor_b32 s12, exec_lo, s12
; %bb.157:                              ;   in Loop: Header=BB4_110 Depth=3
	v_cmp_lt_u32_e32 vcc_lo, 0xffffff, v52
	v_sub_nc_u32_e32 v17, v96, v97
	v_cndmask_b32_e64 v96, 0, 1, vcc_lo
	v_add_co_ci_u32_e64 v17, null, 0, v17, vcc_lo
	v_lshrrev_b32_e32 v52, v96, v52
; %bb.158:                              ;   in Loop: Header=BB4_110 Depth=3
	s_andn2_saveexec_b32 s12, s12
; %bb.159:                              ;   in Loop: Header=BB4_110 Depth=3
	v_bfe_u32 v17, v52, 23, 1
; %bb.160:                              ;   in Loop: Header=BB4_110 Depth=3
	s_or_b32 exec_lo, exec_lo, s12
	v_lshrrev_b32_e32 v52, 21, v52
	v_min_i32_e32 v96, 31, v17
	v_cmp_gt_i32_e32 vcc_lo, 32, v17
	v_and_b32_sdwa v20, v20, v40 dst_sel:DWORD dst_unused:UNUSED_PAD src0_sel:BYTE_3 src1_sel:DWORD
	v_lshlrev_b32_e32 v96, 2, v96
	v_cndmask_b32_e32 v52, 3, v52, vcc_lo
	v_and_b32_e32 v96, 0xfc, v96
	v_and_b32_e32 v97, 3, v52
	v_or_b32_e32 v17, v17, v52
	v_or3_b32 v20, v96, v20, v97
	v_cmp_ne_u32_e32 vcc_lo, 0, v17
	v_cndmask_b32_e32 v17, 0, v20, vcc_lo
.LBB4_161:                              ;   in Loop: Header=BB4_110 Depth=3
	s_or_b32 exec_lo, exec_lo, s26
.LBB4_162:                              ;   in Loop: Header=BB4_110 Depth=3
	s_or_b32 exec_lo, exec_lo, s25
                                        ; implicit-def: $vgpr52
	s_and_saveexec_b32 s12, s9
	s_xor_b32 s12, exec_lo, s12
	s_cbranch_execz .LBB4_176
; %bb.163:                              ;   in Loop: Header=BB4_110 Depth=3
	v_cmp_gt_i16_sdwa s26, v19, v119 src0_sel:BYTE_1 src1_sel:DWORD
	s_mov_b32 s25, 0
	s_and_saveexec_b32 s27, s26
	s_xor_b32 s26, exec_lo, s27
	s_cbranch_execz .LBB4_420
; %bb.164:                              ;   in Loop: Header=BB4_110 Depth=3
	v_cmp_eq_u16_sdwa s28, v19, v40 src0_sel:BYTE_1 src1_sel:DWORD
	s_mov_b32 s25, -1
	s_and_saveexec_b32 s27, s28
; %bb.165:                              ;   in Loop: Header=BB4_110 Depth=3
	s_xor_b32 s25, exec_lo, -1
; %bb.166:                              ;   in Loop: Header=BB4_110 Depth=3
	s_or_b32 exec_lo, exec_lo, s27
	s_and_b32 s25, s25, exec_lo
	s_or_saveexec_b32 s26, s26
	v_mov_b32_e32 v20, 0x7f800001
	s_xor_b32 exec_lo, exec_lo, s26
	s_cbranch_execnz .LBB4_421
.LBB4_167:                              ;   in Loop: Header=BB4_110 Depth=3
	s_or_b32 exec_lo, exec_lo, s26
	s_and_saveexec_b32 s26, s25
	s_cbranch_execz .LBB4_169
.LBB4_168:                              ;   in Loop: Header=BB4_110 Depth=3
	v_and_b32_sdwa v20, v41, v19 dst_sel:DWORD dst_unused:UNUSED_PAD src0_sel:DWORD src1_sel:BYTE_1
	v_and_b32_e32 v52, 3, v20
	v_bfe_u32 v74, v20, 2, 5
	v_ffbh_u32_e32 v96, v52
	v_cmp_eq_u32_e32 vcc_lo, 0, v74
	v_min_u32_e32 v96, 32, v96
	v_subrev_nc_u32_e32 v97, 29, v96
	v_sub_nc_u32_e32 v96, 30, v96
	v_lshlrev_b32_e32 v20, v97, v20
	v_lshlrev_b32_e32 v97, 16, v19
	v_cndmask_b32_e32 v96, v74, v96, vcc_lo
	v_and_b32_e32 v20, 3, v20
	v_lshl_add_u32 v96, v96, 23, 0x37800000
	v_cndmask_b32_e32 v20, v52, v20, vcc_lo
	v_and_b32_e32 v52, 0x80000000, v97
	v_lshlrev_b32_e32 v20, 21, v20
	v_or3_b32 v20, v52, v96, v20
.LBB4_169:                              ;   in Loop: Header=BB4_110 Depth=3
	s_or_b32 exec_lo, exec_lo, s26
	v_cmp_gt_i16_sdwa s26, v83, v119 src0_sel:BYTE_1 src1_sel:DWORD
	s_mov_b32 s25, 0
	s_and_saveexec_b32 s27, s26
	s_xor_b32 s26, exec_lo, s27
	s_cbranch_execz .LBB4_422
; %bb.170:                              ;   in Loop: Header=BB4_110 Depth=3
	v_cmp_eq_u16_sdwa s28, v83, v40 src0_sel:BYTE_1 src1_sel:DWORD
	s_mov_b32 s25, -1
	s_and_saveexec_b32 s27, s28
; %bb.171:                              ;   in Loop: Header=BB4_110 Depth=3
	s_xor_b32 s25, exec_lo, -1
; %bb.172:                              ;   in Loop: Header=BB4_110 Depth=3
	s_or_b32 exec_lo, exec_lo, s27
	s_and_b32 s25, s25, exec_lo
	s_or_saveexec_b32 s26, s26
	v_mov_b32_e32 v52, 0x7f800001
	s_xor_b32 exec_lo, exec_lo, s26
	s_cbranch_execnz .LBB4_423
.LBB4_173:                              ;   in Loop: Header=BB4_110 Depth=3
	s_or_b32 exec_lo, exec_lo, s26
	s_and_saveexec_b32 s26, s25
	s_cbranch_execz .LBB4_175
.LBB4_174:                              ;   in Loop: Header=BB4_110 Depth=3
	v_and_b32_sdwa v52, v41, v83 dst_sel:DWORD dst_unused:UNUSED_PAD src0_sel:DWORD src1_sel:BYTE_1
	v_and_b32_e32 v96, 3, v52
	v_bfe_u32 v75, v52, 2, 5
	v_ffbh_u32_e32 v97, v96
	v_cmp_eq_u32_e32 vcc_lo, 0, v75
	v_min_u32_e32 v97, 32, v97
	v_subrev_nc_u32_e32 v74, 29, v97
	v_sub_nc_u32_e32 v97, 30, v97
	v_lshlrev_b32_e32 v52, v74, v52
	v_lshlrev_b32_e32 v74, 16, v83
	v_cndmask_b32_e32 v97, v75, v97, vcc_lo
	v_and_b32_e32 v52, 3, v52
	v_lshl_add_u32 v97, v97, 23, 0x37800000
	v_cndmask_b32_e32 v52, v96, v52, vcc_lo
	v_and_b32_e32 v96, 0x80000000, v74
	v_lshlrev_b32_e32 v52, 21, v52
	v_or3_b32 v52, v96, v97, v52
.LBB4_175:                              ;   in Loop: Header=BB4_110 Depth=3
	s_or_b32 exec_lo, exec_lo, s26
	v_max_f32_e32 v52, v52, v52
	v_max_f32_e32 v20, v20, v20
	;; [unrolled: 1-line block ×3, first 2 shown]
	s_andn2_saveexec_b32 s12, s12
	s_cbranch_execz .LBB4_190
	s_branch .LBB4_177
.LBB4_176:                              ;   in Loop: Header=BB4_110 Depth=3
	s_andn2_saveexec_b32 s12, s12
	s_cbranch_execz .LBB4_190
.LBB4_177:                              ;   in Loop: Header=BB4_110 Depth=3
	v_cmp_gt_i16_sdwa s26, v19, v119 src0_sel:BYTE_1 src1_sel:DWORD
	s_mov_b32 s25, 0
	s_and_saveexec_b32 s27, s26
	s_xor_b32 s26, exec_lo, s27
	s_cbranch_execz .LBB4_424
; %bb.178:                              ;   in Loop: Header=BB4_110 Depth=3
	v_cmp_eq_u16_sdwa s28, v19, v40 src0_sel:BYTE_1 src1_sel:DWORD
	s_mov_b32 s25, -1
	s_and_saveexec_b32 s27, s28
; %bb.179:                              ;   in Loop: Header=BB4_110 Depth=3
	s_xor_b32 s25, exec_lo, -1
; %bb.180:                              ;   in Loop: Header=BB4_110 Depth=3
	s_or_b32 exec_lo, exec_lo, s27
	s_and_b32 s25, s25, exec_lo
	s_or_saveexec_b32 s26, s26
	v_mov_b32_e32 v20, 0x7f800001
	s_xor_b32 exec_lo, exec_lo, s26
	s_cbranch_execnz .LBB4_425
.LBB4_181:                              ;   in Loop: Header=BB4_110 Depth=3
	s_or_b32 exec_lo, exec_lo, s26
	s_and_saveexec_b32 s26, s25
	s_cbranch_execz .LBB4_183
.LBB4_182:                              ;   in Loop: Header=BB4_110 Depth=3
	v_and_b32_sdwa v20, v41, v19 dst_sel:DWORD dst_unused:UNUSED_PAD src0_sel:DWORD src1_sel:BYTE_1
	v_and_b32_e32 v52, 3, v20
	v_bfe_u32 v74, v20, 2, 5
	v_ffbh_u32_e32 v96, v52
	v_cmp_eq_u32_e32 vcc_lo, 0, v74
	v_min_u32_e32 v96, 32, v96
	v_subrev_nc_u32_e32 v97, 29, v96
	v_sub_nc_u32_e32 v96, 30, v96
	v_lshlrev_b32_e32 v20, v97, v20
	v_lshlrev_b32_e32 v97, 16, v19
	v_cndmask_b32_e32 v96, v74, v96, vcc_lo
	v_and_b32_e32 v20, 3, v20
	v_lshl_add_u32 v96, v96, 23, 0x37800000
	v_cndmask_b32_e32 v20, v52, v20, vcc_lo
	v_and_b32_e32 v52, 0x80000000, v97
	v_lshlrev_b32_e32 v20, 21, v20
	v_or3_b32 v20, v52, v96, v20
.LBB4_183:                              ;   in Loop: Header=BB4_110 Depth=3
	s_or_b32 exec_lo, exec_lo, s26
	v_cmp_gt_i16_sdwa s26, v83, v119 src0_sel:BYTE_1 src1_sel:DWORD
	s_mov_b32 s25, 0
	s_and_saveexec_b32 s27, s26
	s_xor_b32 s26, exec_lo, s27
	s_cbranch_execz .LBB4_426
; %bb.184:                              ;   in Loop: Header=BB4_110 Depth=3
	v_cmp_eq_u16_sdwa s28, v83, v40 src0_sel:BYTE_1 src1_sel:DWORD
	s_mov_b32 s25, -1
	s_and_saveexec_b32 s27, s28
; %bb.185:                              ;   in Loop: Header=BB4_110 Depth=3
	s_xor_b32 s25, exec_lo, -1
; %bb.186:                              ;   in Loop: Header=BB4_110 Depth=3
	s_or_b32 exec_lo, exec_lo, s27
	s_and_b32 s25, s25, exec_lo
	s_or_saveexec_b32 s26, s26
	v_mov_b32_e32 v52, 0x7f800001
	s_xor_b32 exec_lo, exec_lo, s26
	s_cbranch_execnz .LBB4_427
.LBB4_187:                              ;   in Loop: Header=BB4_110 Depth=3
	s_or_b32 exec_lo, exec_lo, s26
	s_and_saveexec_b32 s26, s25
	s_cbranch_execz .LBB4_189
.LBB4_188:                              ;   in Loop: Header=BB4_110 Depth=3
	v_and_b32_sdwa v52, v41, v83 dst_sel:DWORD dst_unused:UNUSED_PAD src0_sel:DWORD src1_sel:BYTE_1
	v_and_b32_e32 v96, 3, v52
	v_bfe_u32 v75, v52, 2, 5
	v_ffbh_u32_e32 v97, v96
	v_cmp_eq_u32_e32 vcc_lo, 0, v75
	v_min_u32_e32 v97, 32, v97
	v_subrev_nc_u32_e32 v74, 29, v97
	v_sub_nc_u32_e32 v97, 30, v97
	v_lshlrev_b32_e32 v52, v74, v52
	v_lshlrev_b32_e32 v74, 16, v83
	v_cndmask_b32_e32 v97, v75, v97, vcc_lo
	v_and_b32_e32 v52, 3, v52
	v_lshl_add_u32 v97, v97, 23, 0x37800000
	v_cndmask_b32_e32 v52, v96, v52, vcc_lo
	v_and_b32_e32 v96, 0x80000000, v74
	v_lshlrev_b32_e32 v52, 21, v52
	v_or3_b32 v52, v96, v97, v52
.LBB4_189:                              ;   in Loop: Header=BB4_110 Depth=3
	s_or_b32 exec_lo, exec_lo, s26
	v_max_f32_e32 v52, v52, v52
	v_max_f32_e32 v20, v20, v20
	v_min_f32_e32 v52, v20, v52
.LBB4_190:                              ;   in Loop: Header=BB4_110 Depth=3
	s_or_b32 exec_lo, exec_lo, s12
	v_and_b32_e32 v20, 0x7f800000, v52
	v_cmp_ne_u32_e32 vcc_lo, 0x7f800000, v20
	v_mov_b32_e32 v20, 0x8000
	s_and_saveexec_b32 s25, vcc_lo
	s_cbranch_execz .LBB4_198
; %bb.191:                              ;   in Loop: Header=BB4_110 Depth=3
	v_mov_b32_e32 v20, 0
	s_mov_b32 s26, exec_lo
	v_cmpx_ne_u32_e32 0, v52
	s_cbranch_execz .LBB4_197
; %bb.192:                              ;   in Loop: Header=BB4_110 Depth=3
	v_bfe_u32 v20, v52, 23, 8
	v_and_b32_e32 v96, 0x7fffff, v52
	v_sub_nc_u32_e32 v97, 0x70, v20
	v_cmp_gt_u32_e32 vcc_lo, 0x71, v20
	v_or_b32_e32 v74, 0x800000, v96
	v_cndmask_b32_e32 v97, 0, v97, vcc_lo
	v_cmp_eq_u32_e32 vcc_lo, 0, v20
	v_add_nc_u32_e32 v20, 0xffffff91, v20
	v_cndmask_b32_e64 v97, v97, 0x6f, vcc_lo
	v_cndmask_b32_e32 v96, v74, v96, vcc_lo
	v_cndmask_b32_e64 v20, v20, 0xffffff92, vcc_lo
	v_lshl_add_u32 v74, 0x200000, v97, -1
	v_lshrrev_b32_e32 v75, v97, v96
	v_lshlrev_b32_e64 v77, v97, 0x100000
	v_add_nc_u32_e32 v97, v97, v20
	v_and_b32_e32 v96, v74, v96
	v_bfe_u32 v76, v75, 21, 1
	v_cmp_eq_u32_e64 s12, v96, v77
	v_add_nc_u32_e32 v74, -1, v76
	v_cndmask_b32_e64 v96, 0, v74, s12
	v_lshrrev_b32_e32 v74, 23, v75
	s_mov_b32 s12, exec_lo
	v_add_nc_u32_e32 v96, v96, v75
	v_xor_b32_e32 v74, 1, v74
	v_and_b32_e32 v20, 0x1fffff, v96
	v_add_nc_u32_e32 v96, v20, v75
                                        ; implicit-def: $vgpr20
	v_cmpx_ne_u32_e64 v97, v74
	s_xor_b32 s12, exec_lo, s12
; %bb.193:                              ;   in Loop: Header=BB4_110 Depth=3
	v_cmp_lt_u32_e32 vcc_lo, 0xffffff, v96
	v_sub_nc_u32_e32 v20, v97, v74
	v_cndmask_b32_e64 v97, 0, 1, vcc_lo
	v_add_co_ci_u32_e64 v20, null, 0, v20, vcc_lo
	v_lshrrev_b32_e32 v96, v97, v96
; %bb.194:                              ;   in Loop: Header=BB4_110 Depth=3
	s_andn2_saveexec_b32 s12, s12
; %bb.195:                              ;   in Loop: Header=BB4_110 Depth=3
	v_bfe_u32 v20, v96, 23, 1
; %bb.196:                              ;   in Loop: Header=BB4_110 Depth=3
	s_or_b32 exec_lo, exec_lo, s12
	v_lshrrev_b32_e32 v96, 21, v96
	v_min_i32_e32 v97, 31, v20
	v_cmp_gt_i32_e32 vcc_lo, 32, v20
	v_and_b32_sdwa v52, v52, v40 dst_sel:DWORD dst_unused:UNUSED_PAD src0_sel:BYTE_3 src1_sel:DWORD
	v_lshlrev_b32_e32 v97, 2, v97
	v_cndmask_b32_e32 v96, 3, v96, vcc_lo
	v_and_b32_e32 v97, 0xfc, v97
	v_and_b32_e32 v74, 3, v96
	v_or_b32_e32 v20, v20, v96
	v_or3_b32 v52, v52, v97, v74
	v_cmp_ne_u32_e32 vcc_lo, 0, v20
	v_lshlrev_b32_e32 v52, 8, v52
	v_cndmask_b32_e32 v20, 0, v52, vcc_lo
.LBB4_197:                              ;   in Loop: Header=BB4_110 Depth=3
	s_or_b32 exec_lo, exec_lo, s26
.LBB4_198:                              ;   in Loop: Header=BB4_110 Depth=3
	s_or_b32 exec_lo, exec_lo, s25
                                        ; implicit-def: $vgpr96
	s_and_saveexec_b32 s12, s9
	s_xor_b32 s12, exec_lo, s12
	s_cbranch_execz .LBB4_212
; %bb.199:                              ;   in Loop: Header=BB4_110 Depth=3
	v_and_b32_sdwa v96, v19, v42 dst_sel:DWORD dst_unused:UNUSED_PAD src0_sel:WORD_1 src1_sel:DWORD
	s_mov_b32 s25, 0
	s_mov_b32 s26, exec_lo
	v_cmpx_lt_i16_e32 0x7f, v96
	s_xor_b32 s26, exec_lo, s26
	s_cbranch_execz .LBB4_428
; %bb.200:                              ;   in Loop: Header=BB4_110 Depth=3
	s_mov_b32 s25, -1
	s_mov_b32 s27, exec_lo
	v_cmpx_eq_u16_e32 0x80, v96
; %bb.201:                              ;   in Loop: Header=BB4_110 Depth=3
	s_xor_b32 s25, exec_lo, -1
; %bb.202:                              ;   in Loop: Header=BB4_110 Depth=3
	s_or_b32 exec_lo, exec_lo, s27
	s_and_b32 s25, s25, exec_lo
                                        ; implicit-def: $vgpr96
	s_or_saveexec_b32 s26, s26
	v_mov_b32_e32 v52, 0x7f800001
	s_xor_b32 exec_lo, exec_lo, s26
	s_cbranch_execnz .LBB4_429
.LBB4_203:                              ;   in Loop: Header=BB4_110 Depth=3
	s_or_b32 exec_lo, exec_lo, s26
	s_and_saveexec_b32 s26, s25
	s_cbranch_execz .LBB4_205
.LBB4_204:                              ;   in Loop: Header=BB4_110 Depth=3
	v_bfe_u32 v52, v19, 16, 2
	v_bfe_u32 v74, v19, 18, 5
	v_lshlrev_b32_sdwa v75, v43, v19 dst_sel:DWORD dst_unused:UNUSED_PAD src0_sel:DWORD src1_sel:WORD_1
	v_ffbh_u32_e32 v96, v52
	v_cmp_eq_u32_e32 vcc_lo, 0, v74
	v_min_u32_e32 v96, 32, v96
	v_subrev_nc_u32_e32 v97, 29, v96
	v_sub_nc_u32_e32 v96, 30, v96
	v_lshlrev_b32_sdwa v97, v97, v19 dst_sel:DWORD dst_unused:UNUSED_PAD src0_sel:DWORD src1_sel:WORD_1
	v_cndmask_b32_e32 v96, v74, v96, vcc_lo
	v_and_b32_e32 v97, 3, v97
	v_lshl_add_u32 v96, v96, 23, 0x37800000
	v_cndmask_b32_e32 v52, v52, v97, vcc_lo
	v_and_b32_e32 v97, 0x80000000, v75
	v_lshlrev_b32_e32 v52, 21, v52
	v_or3_b32 v52, v97, v96, v52
.LBB4_205:                              ;   in Loop: Header=BB4_110 Depth=3
	s_or_b32 exec_lo, exec_lo, s26
	v_and_b32_sdwa v97, v83, v42 dst_sel:DWORD dst_unused:UNUSED_PAD src0_sel:WORD_1 src1_sel:DWORD
	s_mov_b32 s25, 0
	s_mov_b32 s26, exec_lo
	v_cmpx_lt_i16_e32 0x7f, v97
	s_xor_b32 s26, exec_lo, s26
	s_cbranch_execz .LBB4_430
; %bb.206:                              ;   in Loop: Header=BB4_110 Depth=3
	s_mov_b32 s25, -1
	s_mov_b32 s27, exec_lo
	v_cmpx_eq_u16_e32 0x80, v97
; %bb.207:                              ;   in Loop: Header=BB4_110 Depth=3
	s_xor_b32 s25, exec_lo, -1
; %bb.208:                              ;   in Loop: Header=BB4_110 Depth=3
	s_or_b32 exec_lo, exec_lo, s27
	s_and_b32 s25, s25, exec_lo
                                        ; implicit-def: $vgpr97
	s_or_saveexec_b32 s26, s26
	v_mov_b32_e32 v96, 0x7f800001
	s_xor_b32 exec_lo, exec_lo, s26
	s_cbranch_execnz .LBB4_431
.LBB4_209:                              ;   in Loop: Header=BB4_110 Depth=3
	s_or_b32 exec_lo, exec_lo, s26
	s_and_saveexec_b32 s26, s25
	s_cbranch_execz .LBB4_211
.LBB4_210:                              ;   in Loop: Header=BB4_110 Depth=3
	v_bfe_u32 v96, v83, 16, 2
	v_bfe_u32 v75, v83, 18, 5
	v_lshlrev_b32_sdwa v76, v43, v83 dst_sel:DWORD dst_unused:UNUSED_PAD src0_sel:DWORD src1_sel:WORD_1
	v_ffbh_u32_e32 v97, v96
	v_cmp_eq_u32_e32 vcc_lo, 0, v75
	v_min_u32_e32 v97, 32, v97
	v_subrev_nc_u32_e32 v74, 29, v97
	v_sub_nc_u32_e32 v97, 30, v97
	v_lshlrev_b32_sdwa v74, v74, v83 dst_sel:DWORD dst_unused:UNUSED_PAD src0_sel:DWORD src1_sel:WORD_1
	v_cndmask_b32_e32 v97, v75, v97, vcc_lo
	v_and_b32_e32 v74, 3, v74
	v_lshl_add_u32 v97, v97, 23, 0x37800000
	v_cndmask_b32_e32 v96, v96, v74, vcc_lo
	v_and_b32_e32 v74, 0x80000000, v76
	v_lshlrev_b32_e32 v96, 21, v96
	v_or3_b32 v96, v74, v97, v96
.LBB4_211:                              ;   in Loop: Header=BB4_110 Depth=3
	s_or_b32 exec_lo, exec_lo, s26
	v_max_f32_e32 v96, v96, v96
	v_max_f32_e32 v52, v52, v52
	;; [unrolled: 1-line block ×3, first 2 shown]
	s_andn2_saveexec_b32 s12, s12
	s_cbranch_execz .LBB4_226
	s_branch .LBB4_213
.LBB4_212:                              ;   in Loop: Header=BB4_110 Depth=3
	s_andn2_saveexec_b32 s12, s12
	s_cbranch_execz .LBB4_226
.LBB4_213:                              ;   in Loop: Header=BB4_110 Depth=3
	v_and_b32_sdwa v96, v19, v42 dst_sel:DWORD dst_unused:UNUSED_PAD src0_sel:WORD_1 src1_sel:DWORD
	s_mov_b32 s25, 0
	s_mov_b32 s26, exec_lo
	v_cmpx_lt_i16_e32 0x7f, v96
	s_xor_b32 s26, exec_lo, s26
	s_cbranch_execz .LBB4_432
; %bb.214:                              ;   in Loop: Header=BB4_110 Depth=3
	s_mov_b32 s25, -1
	s_mov_b32 s27, exec_lo
	v_cmpx_eq_u16_e32 0x80, v96
; %bb.215:                              ;   in Loop: Header=BB4_110 Depth=3
	s_xor_b32 s25, exec_lo, -1
; %bb.216:                              ;   in Loop: Header=BB4_110 Depth=3
	s_or_b32 exec_lo, exec_lo, s27
	s_and_b32 s25, s25, exec_lo
                                        ; implicit-def: $vgpr96
	s_or_saveexec_b32 s26, s26
	v_mov_b32_e32 v52, 0x7f800001
	s_xor_b32 exec_lo, exec_lo, s26
	s_cbranch_execnz .LBB4_433
.LBB4_217:                              ;   in Loop: Header=BB4_110 Depth=3
	s_or_b32 exec_lo, exec_lo, s26
	s_and_saveexec_b32 s26, s25
	s_cbranch_execz .LBB4_219
.LBB4_218:                              ;   in Loop: Header=BB4_110 Depth=3
	v_bfe_u32 v52, v19, 16, 2
	v_bfe_u32 v74, v19, 18, 5
	v_lshlrev_b32_sdwa v75, v43, v19 dst_sel:DWORD dst_unused:UNUSED_PAD src0_sel:DWORD src1_sel:WORD_1
	v_ffbh_u32_e32 v96, v52
	v_cmp_eq_u32_e32 vcc_lo, 0, v74
	v_min_u32_e32 v96, 32, v96
	v_subrev_nc_u32_e32 v97, 29, v96
	v_sub_nc_u32_e32 v96, 30, v96
	v_lshlrev_b32_sdwa v97, v97, v19 dst_sel:DWORD dst_unused:UNUSED_PAD src0_sel:DWORD src1_sel:WORD_1
	v_cndmask_b32_e32 v96, v74, v96, vcc_lo
	v_and_b32_e32 v97, 3, v97
	v_lshl_add_u32 v96, v96, 23, 0x37800000
	v_cndmask_b32_e32 v52, v52, v97, vcc_lo
	v_and_b32_e32 v97, 0x80000000, v75
	v_lshlrev_b32_e32 v52, 21, v52
	v_or3_b32 v52, v97, v96, v52
.LBB4_219:                              ;   in Loop: Header=BB4_110 Depth=3
	s_or_b32 exec_lo, exec_lo, s26
	v_and_b32_sdwa v97, v83, v42 dst_sel:DWORD dst_unused:UNUSED_PAD src0_sel:WORD_1 src1_sel:DWORD
	s_mov_b32 s25, 0
	s_mov_b32 s26, exec_lo
	v_cmpx_lt_i16_e32 0x7f, v97
	s_xor_b32 s26, exec_lo, s26
	s_cbranch_execz .LBB4_434
; %bb.220:                              ;   in Loop: Header=BB4_110 Depth=3
	s_mov_b32 s25, -1
	s_mov_b32 s27, exec_lo
	v_cmpx_eq_u16_e32 0x80, v97
; %bb.221:                              ;   in Loop: Header=BB4_110 Depth=3
	s_xor_b32 s25, exec_lo, -1
; %bb.222:                              ;   in Loop: Header=BB4_110 Depth=3
	s_or_b32 exec_lo, exec_lo, s27
	s_and_b32 s25, s25, exec_lo
                                        ; implicit-def: $vgpr97
	s_or_saveexec_b32 s26, s26
	v_mov_b32_e32 v96, 0x7f800001
	s_xor_b32 exec_lo, exec_lo, s26
	s_cbranch_execnz .LBB4_435
.LBB4_223:                              ;   in Loop: Header=BB4_110 Depth=3
	s_or_b32 exec_lo, exec_lo, s26
	s_and_saveexec_b32 s26, s25
	s_cbranch_execz .LBB4_225
.LBB4_224:                              ;   in Loop: Header=BB4_110 Depth=3
	v_bfe_u32 v96, v83, 16, 2
	v_bfe_u32 v75, v83, 18, 5
	v_lshlrev_b32_sdwa v76, v43, v83 dst_sel:DWORD dst_unused:UNUSED_PAD src0_sel:DWORD src1_sel:WORD_1
	v_ffbh_u32_e32 v97, v96
	v_cmp_eq_u32_e32 vcc_lo, 0, v75
	v_min_u32_e32 v97, 32, v97
	v_subrev_nc_u32_e32 v74, 29, v97
	v_sub_nc_u32_e32 v97, 30, v97
	v_lshlrev_b32_sdwa v74, v74, v83 dst_sel:DWORD dst_unused:UNUSED_PAD src0_sel:DWORD src1_sel:WORD_1
	v_cndmask_b32_e32 v97, v75, v97, vcc_lo
	v_and_b32_e32 v74, 3, v74
	v_lshl_add_u32 v97, v97, 23, 0x37800000
	v_cndmask_b32_e32 v96, v96, v74, vcc_lo
	v_and_b32_e32 v74, 0x80000000, v76
	v_lshlrev_b32_e32 v96, 21, v96
	v_or3_b32 v96, v74, v97, v96
.LBB4_225:                              ;   in Loop: Header=BB4_110 Depth=3
	s_or_b32 exec_lo, exec_lo, s26
	v_max_f32_e32 v96, v96, v96
	v_max_f32_e32 v52, v52, v52
	v_min_f32_e32 v96, v52, v96
.LBB4_226:                              ;   in Loop: Header=BB4_110 Depth=3
	s_or_b32 exec_lo, exec_lo, s12
	v_and_b32_e32 v52, 0x7f800000, v96
	v_cmp_ne_u32_e32 vcc_lo, 0x7f800000, v52
	v_mov_b32_e32 v52, 0x80
	s_and_saveexec_b32 s25, vcc_lo
	s_cbranch_execz .LBB4_234
; %bb.227:                              ;   in Loop: Header=BB4_110 Depth=3
	v_mov_b32_e32 v52, 0
	s_mov_b32 s26, exec_lo
	v_cmpx_ne_u32_e32 0, v96
	s_cbranch_execz .LBB4_233
; %bb.228:                              ;   in Loop: Header=BB4_110 Depth=3
	v_bfe_u32 v52, v96, 23, 8
	v_and_b32_e32 v97, 0x7fffff, v96
	v_sub_nc_u32_e32 v74, 0x70, v52
	v_cmp_gt_u32_e32 vcc_lo, 0x71, v52
	v_or_b32_e32 v75, 0x800000, v97
	v_cndmask_b32_e32 v74, 0, v74, vcc_lo
	v_cmp_eq_u32_e32 vcc_lo, 0, v52
	v_add_nc_u32_e32 v52, 0xffffff91, v52
	v_cndmask_b32_e64 v74, v74, 0x6f, vcc_lo
	v_cndmask_b32_e32 v97, v75, v97, vcc_lo
	v_cndmask_b32_e64 v52, v52, 0xffffff92, vcc_lo
	v_lshl_add_u32 v75, 0x200000, v74, -1
	v_lshrrev_b32_e32 v76, v74, v97
	v_lshlrev_b32_e64 v78, v74, 0x100000
	v_add_nc_u32_e32 v74, v74, v52
	v_and_b32_e32 v97, v75, v97
	v_bfe_u32 v77, v76, 21, 1
	v_cmp_eq_u32_e64 s12, v97, v78
	v_add_nc_u32_e32 v75, -1, v77
	v_cndmask_b32_e64 v97, 0, v75, s12
	v_lshrrev_b32_e32 v75, 23, v76
	s_mov_b32 s12, exec_lo
	v_add_nc_u32_e32 v97, v97, v76
	v_xor_b32_e32 v75, 1, v75
	v_and_b32_e32 v52, 0x1fffff, v97
	v_add_nc_u32_e32 v97, v52, v76
                                        ; implicit-def: $vgpr52
	v_cmpx_ne_u32_e64 v74, v75
	s_xor_b32 s12, exec_lo, s12
; %bb.229:                              ;   in Loop: Header=BB4_110 Depth=3
	v_cmp_lt_u32_e32 vcc_lo, 0xffffff, v97
	v_sub_nc_u32_e32 v52, v74, v75
	v_cndmask_b32_e64 v74, 0, 1, vcc_lo
	v_add_co_ci_u32_e64 v52, null, 0, v52, vcc_lo
	v_lshrrev_b32_e32 v97, v74, v97
; %bb.230:                              ;   in Loop: Header=BB4_110 Depth=3
	s_andn2_saveexec_b32 s12, s12
; %bb.231:                              ;   in Loop: Header=BB4_110 Depth=3
	v_bfe_u32 v52, v97, 23, 1
; %bb.232:                              ;   in Loop: Header=BB4_110 Depth=3
	s_or_b32 exec_lo, exec_lo, s12
	v_lshrrev_b32_e32 v97, 21, v97
	v_min_i32_e32 v74, 31, v52
	v_cmp_gt_i32_e32 vcc_lo, 32, v52
	v_and_b32_sdwa v96, v96, v40 dst_sel:DWORD dst_unused:UNUSED_PAD src0_sel:BYTE_3 src1_sel:DWORD
	v_lshlrev_b32_e32 v74, 2, v74
	v_cndmask_b32_e32 v97, 3, v97, vcc_lo
	v_and_b32_e32 v74, 0xfc, v74
	v_and_b32_e32 v75, 3, v97
	v_or_b32_e32 v52, v52, v97
	v_or3_b32 v96, v74, v96, v75
	v_cmp_ne_u32_e32 vcc_lo, 0, v52
	v_cndmask_b32_e32 v52, 0, v96, vcc_lo
.LBB4_233:                              ;   in Loop: Header=BB4_110 Depth=3
	s_or_b32 exec_lo, exec_lo, s26
.LBB4_234:                              ;   in Loop: Header=BB4_110 Depth=3
	s_or_b32 exec_lo, exec_lo, s25
                                        ; implicit-def: $vgpr96
	s_and_saveexec_b32 s12, s9
	s_xor_b32 s12, exec_lo, s12
	s_cbranch_execz .LBB4_248
; %bb.235:                              ;   in Loop: Header=BB4_110 Depth=3
	v_cmp_gt_i16_sdwa s26, v19, v119 src0_sel:BYTE_3 src1_sel:DWORD
	s_mov_b32 s25, 0
	s_and_saveexec_b32 s27, s26
	s_xor_b32 s26, exec_lo, s27
	s_cbranch_execz .LBB4_436
; %bb.236:                              ;   in Loop: Header=BB4_110 Depth=3
	v_cmp_eq_u16_sdwa s28, v19, v40 src0_sel:BYTE_3 src1_sel:DWORD
	s_mov_b32 s25, -1
	s_and_saveexec_b32 s27, s28
; %bb.237:                              ;   in Loop: Header=BB4_110 Depth=3
	s_xor_b32 s25, exec_lo, -1
; %bb.238:                              ;   in Loop: Header=BB4_110 Depth=3
	s_or_b32 exec_lo, exec_lo, s27
	s_and_b32 s25, s25, exec_lo
	s_or_saveexec_b32 s26, s26
	v_mov_b32_e32 v96, 0x7f800001
	s_xor_b32 exec_lo, exec_lo, s26
	s_cbranch_execnz .LBB4_437
.LBB4_239:                              ;   in Loop: Header=BB4_110 Depth=3
	s_or_b32 exec_lo, exec_lo, s26
	s_and_saveexec_b32 s26, s25
	s_cbranch_execz .LBB4_241
.LBB4_240:                              ;   in Loop: Header=BB4_110 Depth=3
	v_bfe_u32 v96, v19, 24, 2
	v_bfe_u32 v75, v19, 26, 5
	v_ffbh_u32_e32 v97, v96
	v_cmp_eq_u32_e32 vcc_lo, 0, v75
	v_min_u32_e32 v97, 32, v97
	v_subrev_nc_u32_e32 v74, 29, v97
	v_sub_nc_u32_e32 v97, 30, v97
	v_lshlrev_b32_sdwa v74, v74, v19 dst_sel:DWORD dst_unused:UNUSED_PAD src0_sel:DWORD src1_sel:BYTE_3
	v_cndmask_b32_e32 v97, v75, v97, vcc_lo
	v_and_b32_e32 v19, 0x80000000, v19
	v_and_b32_e32 v74, 3, v74
	v_lshl_add_u32 v97, v97, 23, 0x37800000
	v_cndmask_b32_e32 v96, v96, v74, vcc_lo
	v_lshlrev_b32_e32 v96, 21, v96
	v_or3_b32 v96, v19, v97, v96
.LBB4_241:                              ;   in Loop: Header=BB4_110 Depth=3
	s_or_b32 exec_lo, exec_lo, s26
	v_cmp_gt_i16_sdwa s26, v83, v119 src0_sel:BYTE_3 src1_sel:DWORD
	s_mov_b32 s25, 0
	s_and_saveexec_b32 s27, s26
	s_xor_b32 s26, exec_lo, s27
	s_cbranch_execz .LBB4_438
; %bb.242:                              ;   in Loop: Header=BB4_110 Depth=3
	v_cmp_eq_u16_sdwa s28, v83, v40 src0_sel:BYTE_3 src1_sel:DWORD
	s_mov_b32 s25, -1
	s_and_saveexec_b32 s27, s28
; %bb.243:                              ;   in Loop: Header=BB4_110 Depth=3
	s_xor_b32 s25, exec_lo, -1
; %bb.244:                              ;   in Loop: Header=BB4_110 Depth=3
	s_or_b32 exec_lo, exec_lo, s27
	s_and_b32 s25, s25, exec_lo
	s_or_saveexec_b32 s26, s26
	v_mov_b32_e32 v19, 0x7f800001
	s_xor_b32 exec_lo, exec_lo, s26
	s_cbranch_execnz .LBB4_439
.LBB4_245:                              ;   in Loop: Header=BB4_110 Depth=3
	s_or_b32 exec_lo, exec_lo, s26
	s_and_saveexec_b32 s26, s25
	s_cbranch_execz .LBB4_247
.LBB4_246:                              ;   in Loop: Header=BB4_110 Depth=3
	v_bfe_u32 v19, v83, 24, 2
	v_bfe_u32 v75, v83, 26, 5
	v_ffbh_u32_e32 v97, v19
	v_cmp_eq_u32_e32 vcc_lo, 0, v75
	v_min_u32_e32 v97, 32, v97
	v_subrev_nc_u32_e32 v74, 29, v97
	v_sub_nc_u32_e32 v97, 30, v97
	v_lshlrev_b32_sdwa v74, v74, v83 dst_sel:DWORD dst_unused:UNUSED_PAD src0_sel:DWORD src1_sel:BYTE_3
	v_cndmask_b32_e32 v97, v75, v97, vcc_lo
	v_and_b32_e32 v83, 0x80000000, v83
	v_and_b32_e32 v74, 3, v74
	v_lshl_add_u32 v97, v97, 23, 0x37800000
	v_cndmask_b32_e32 v19, v19, v74, vcc_lo
	v_lshlrev_b32_e32 v19, 21, v19
	v_or3_b32 v19, v83, v97, v19
.LBB4_247:                              ;   in Loop: Header=BB4_110 Depth=3
	s_or_b32 exec_lo, exec_lo, s26
	v_max_f32_e32 v19, v19, v19
	v_max_f32_e32 v83, v96, v96
	;; [unrolled: 1-line block ×3, first 2 shown]
                                        ; implicit-def: $vgpr83
	s_andn2_saveexec_b32 s12, s12
	s_cbranch_execz .LBB4_262
	s_branch .LBB4_249
.LBB4_248:                              ;   in Loop: Header=BB4_110 Depth=3
	s_andn2_saveexec_b32 s12, s12
	s_cbranch_execz .LBB4_262
.LBB4_249:                              ;   in Loop: Header=BB4_110 Depth=3
	v_cmp_gt_i16_sdwa s26, v19, v119 src0_sel:BYTE_3 src1_sel:DWORD
	s_mov_b32 s25, 0
	s_and_saveexec_b32 s27, s26
	s_xor_b32 s26, exec_lo, s27
	s_cbranch_execz .LBB4_440
; %bb.250:                              ;   in Loop: Header=BB4_110 Depth=3
	v_cmp_eq_u16_sdwa s28, v19, v40 src0_sel:BYTE_3 src1_sel:DWORD
	s_mov_b32 s25, -1
	s_and_saveexec_b32 s27, s28
; %bb.251:                              ;   in Loop: Header=BB4_110 Depth=3
	s_xor_b32 s25, exec_lo, -1
; %bb.252:                              ;   in Loop: Header=BB4_110 Depth=3
	s_or_b32 exec_lo, exec_lo, s27
	s_and_b32 s25, s25, exec_lo
	s_or_saveexec_b32 s26, s26
	v_mov_b32_e32 v96, 0x7f800001
	s_xor_b32 exec_lo, exec_lo, s26
	s_cbranch_execnz .LBB4_441
.LBB4_253:                              ;   in Loop: Header=BB4_110 Depth=3
	s_or_b32 exec_lo, exec_lo, s26
	s_and_saveexec_b32 s26, s25
	s_cbranch_execz .LBB4_255
.LBB4_254:                              ;   in Loop: Header=BB4_110 Depth=3
	v_bfe_u32 v96, v19, 24, 2
	v_bfe_u32 v75, v19, 26, 5
	v_ffbh_u32_e32 v97, v96
	v_cmp_eq_u32_e32 vcc_lo, 0, v75
	v_min_u32_e32 v97, 32, v97
	v_subrev_nc_u32_e32 v74, 29, v97
	v_sub_nc_u32_e32 v97, 30, v97
	v_lshlrev_b32_sdwa v74, v74, v19 dst_sel:DWORD dst_unused:UNUSED_PAD src0_sel:DWORD src1_sel:BYTE_3
	v_cndmask_b32_e32 v97, v75, v97, vcc_lo
	v_and_b32_e32 v19, 0x80000000, v19
	v_and_b32_e32 v74, 3, v74
	v_lshl_add_u32 v97, v97, 23, 0x37800000
	v_cndmask_b32_e32 v96, v96, v74, vcc_lo
	v_lshlrev_b32_e32 v96, 21, v96
	v_or3_b32 v96, v19, v97, v96
.LBB4_255:                              ;   in Loop: Header=BB4_110 Depth=3
	s_or_b32 exec_lo, exec_lo, s26
	v_cmp_gt_i16_sdwa s26, v83, v119 src0_sel:BYTE_3 src1_sel:DWORD
	s_mov_b32 s25, 0
	s_and_saveexec_b32 s27, s26
	s_xor_b32 s26, exec_lo, s27
	s_cbranch_execz .LBB4_442
; %bb.256:                              ;   in Loop: Header=BB4_110 Depth=3
	v_cmp_eq_u16_sdwa s28, v83, v40 src0_sel:BYTE_3 src1_sel:DWORD
	s_mov_b32 s25, -1
	s_and_saveexec_b32 s27, s28
; %bb.257:                              ;   in Loop: Header=BB4_110 Depth=3
	s_xor_b32 s25, exec_lo, -1
; %bb.258:                              ;   in Loop: Header=BB4_110 Depth=3
	s_or_b32 exec_lo, exec_lo, s27
	s_and_b32 s25, s25, exec_lo
	s_or_saveexec_b32 s26, s26
	v_mov_b32_e32 v19, 0x7f800001
	s_xor_b32 exec_lo, exec_lo, s26
	s_cbranch_execnz .LBB4_443
.LBB4_259:                              ;   in Loop: Header=BB4_110 Depth=3
	s_or_b32 exec_lo, exec_lo, s26
	s_and_saveexec_b32 s26, s25
	s_cbranch_execz .LBB4_261
.LBB4_260:                              ;   in Loop: Header=BB4_110 Depth=3
	v_bfe_u32 v19, v83, 24, 2
	v_bfe_u32 v75, v83, 26, 5
	v_ffbh_u32_e32 v97, v19
	v_cmp_eq_u32_e32 vcc_lo, 0, v75
	v_min_u32_e32 v97, 32, v97
	v_subrev_nc_u32_e32 v74, 29, v97
	v_sub_nc_u32_e32 v97, 30, v97
	v_lshlrev_b32_sdwa v74, v74, v83 dst_sel:DWORD dst_unused:UNUSED_PAD src0_sel:DWORD src1_sel:BYTE_3
	v_cndmask_b32_e32 v97, v75, v97, vcc_lo
	v_and_b32_e32 v83, 0x80000000, v83
	v_and_b32_e32 v74, 3, v74
	v_lshl_add_u32 v97, v97, 23, 0x37800000
	v_cndmask_b32_e32 v19, v19, v74, vcc_lo
	v_lshlrev_b32_e32 v19, 21, v19
	v_or3_b32 v19, v83, v97, v19
.LBB4_261:                              ;   in Loop: Header=BB4_110 Depth=3
	s_or_b32 exec_lo, exec_lo, s26
	v_max_f32_e32 v19, v19, v19
	v_max_f32_e32 v83, v96, v96
	v_min_f32_e32 v96, v83, v19
.LBB4_262:                              ;   in Loop: Header=BB4_110 Depth=3
	s_or_b32 exec_lo, exec_lo, s12
	v_and_b32_e32 v19, 0x7f800000, v96
	v_cmp_ne_u32_e32 vcc_lo, 0x7f800000, v19
	v_mov_b32_e32 v19, 0x8000
	s_and_saveexec_b32 s25, vcc_lo
	s_cbranch_execz .LBB4_270
; %bb.263:                              ;   in Loop: Header=BB4_110 Depth=3
	v_mov_b32_e32 v19, 0
	s_mov_b32 s26, exec_lo
	v_cmpx_ne_u32_e32 0, v96
	s_cbranch_execz .LBB4_269
; %bb.264:                              ;   in Loop: Header=BB4_110 Depth=3
	v_bfe_u32 v19, v96, 23, 8
	v_and_b32_e32 v83, 0x7fffff, v96
	v_sub_nc_u32_e32 v97, 0x70, v19
	v_cmp_gt_u32_e32 vcc_lo, 0x71, v19
	v_or_b32_e32 v74, 0x800000, v83
	v_cndmask_b32_e32 v97, 0, v97, vcc_lo
	v_cmp_eq_u32_e32 vcc_lo, 0, v19
	v_add_nc_u32_e32 v19, 0xffffff91, v19
	v_cndmask_b32_e64 v97, v97, 0x6f, vcc_lo
	v_cndmask_b32_e32 v83, v74, v83, vcc_lo
	v_cndmask_b32_e64 v19, v19, 0xffffff92, vcc_lo
	v_lshl_add_u32 v74, 0x200000, v97, -1
	v_lshrrev_b32_e32 v75, v97, v83
	v_lshlrev_b32_e64 v77, v97, 0x100000
	v_add_nc_u32_e32 v97, v97, v19
	v_and_b32_e32 v83, v74, v83
	v_bfe_u32 v76, v75, 21, 1
	v_cmp_eq_u32_e64 s12, v83, v77
	v_add_nc_u32_e32 v74, -1, v76
	v_cndmask_b32_e64 v83, 0, v74, s12
	v_lshrrev_b32_e32 v74, 23, v75
	s_mov_b32 s12, exec_lo
	v_add_nc_u32_e32 v83, v83, v75
	v_xor_b32_e32 v74, 1, v74
	v_and_b32_e32 v19, 0x1fffff, v83
	v_add_nc_u32_e32 v83, v19, v75
                                        ; implicit-def: $vgpr19
	v_cmpx_ne_u32_e64 v97, v74
	s_xor_b32 s12, exec_lo, s12
; %bb.265:                              ;   in Loop: Header=BB4_110 Depth=3
	v_cmp_lt_u32_e32 vcc_lo, 0xffffff, v83
	v_sub_nc_u32_e32 v19, v97, v74
	v_cndmask_b32_e64 v97, 0, 1, vcc_lo
	v_add_co_ci_u32_e64 v19, null, 0, v19, vcc_lo
	v_lshrrev_b32_e32 v83, v97, v83
; %bb.266:                              ;   in Loop: Header=BB4_110 Depth=3
	s_andn2_saveexec_b32 s12, s12
; %bb.267:                              ;   in Loop: Header=BB4_110 Depth=3
	v_bfe_u32 v19, v83, 23, 1
; %bb.268:                              ;   in Loop: Header=BB4_110 Depth=3
	s_or_b32 exec_lo, exec_lo, s12
	v_lshrrev_b32_e32 v83, 21, v83
	v_min_i32_e32 v97, 31, v19
	v_cmp_gt_i32_e32 vcc_lo, 32, v19
	v_and_b32_sdwa v96, v96, v40 dst_sel:DWORD dst_unused:UNUSED_PAD src0_sel:BYTE_3 src1_sel:DWORD
	v_lshlrev_b32_e32 v97, 2, v97
	v_cndmask_b32_e32 v83, 3, v83, vcc_lo
	v_and_b32_e32 v97, 0xfc, v97
	v_and_b32_e32 v74, 3, v83
	v_or_b32_e32 v19, v19, v83
	v_or3_b32 v96, v96, v97, v74
	v_cmp_ne_u32_e32 vcc_lo, 0, v19
	v_lshlrev_b32_e32 v83, 8, v96
	v_cndmask_b32_e32 v19, 0, v83, vcc_lo
.LBB4_269:                              ;   in Loop: Header=BB4_110 Depth=3
	s_or_b32 exec_lo, exec_lo, s26
.LBB4_270:                              ;   in Loop: Header=BB4_110 Depth=3
	s_or_b32 exec_lo, exec_lo, s25
	v_alignbit_b32 v83, v72, v73, v22
                                        ; implicit-def: $vgpr22
	s_and_saveexec_b32 s12, s9
	s_xor_b32 s12, exec_lo, s12
	s_cbranch_execz .LBB4_284
; %bb.271:                              ;   in Loop: Header=BB4_110 Depth=3
	v_cmp_gt_i16_sdwa s26, v21, v119 src0_sel:BYTE_0 src1_sel:DWORD
	s_mov_b32 s25, 0
	s_and_saveexec_b32 s27, s26
	s_xor_b32 s26, exec_lo, s27
	s_cbranch_execz .LBB4_444
; %bb.272:                              ;   in Loop: Header=BB4_110 Depth=3
	v_cmp_eq_u16_sdwa s28, v21, v40 src0_sel:BYTE_0 src1_sel:DWORD
	s_mov_b32 s25, -1
	s_and_saveexec_b32 s27, s28
; %bb.273:                              ;   in Loop: Header=BB4_110 Depth=3
	s_xor_b32 s25, exec_lo, -1
; %bb.274:                              ;   in Loop: Header=BB4_110 Depth=3
	s_or_b32 exec_lo, exec_lo, s27
	s_and_b32 s25, s25, exec_lo
	s_or_saveexec_b32 s26, s26
	v_mov_b32_e32 v22, 0x7f800001
	s_xor_b32 exec_lo, exec_lo, s26
	s_cbranch_execnz .LBB4_445
.LBB4_275:                              ;   in Loop: Header=BB4_110 Depth=3
	s_or_b32 exec_lo, exec_lo, s26
	s_and_saveexec_b32 s26, s25
	s_cbranch_execz .LBB4_277
.LBB4_276:                              ;   in Loop: Header=BB4_110 Depth=3
	v_and_b32_e32 v22, 3, v21
	v_bfe_u32 v72, v21, 2, 5
	v_lshlrev_b32_e32 v73, 24, v21
	v_ffbh_u32_e32 v96, v22
	v_cmp_eq_u32_e32 vcc_lo, 0, v72
	v_min_u32_e32 v96, 32, v96
	v_subrev_nc_u32_e32 v97, 29, v96
	v_sub_nc_u32_e32 v96, 30, v96
	v_lshlrev_b32_e32 v97, v97, v21
	v_cndmask_b32_e32 v96, v72, v96, vcc_lo
	v_and_b32_e32 v97, 3, v97
	v_lshl_add_u32 v96, v96, 23, 0x37800000
	v_cndmask_b32_e32 v22, v22, v97, vcc_lo
	v_and_b32_e32 v97, 0x80000000, v73
	v_lshlrev_b32_e32 v22, 21, v22
	v_or3_b32 v22, v97, v96, v22
.LBB4_277:                              ;   in Loop: Header=BB4_110 Depth=3
	s_or_b32 exec_lo, exec_lo, s26
	v_cmp_gt_i16_sdwa s26, v83, v119 src0_sel:BYTE_0 src1_sel:DWORD
	s_mov_b32 s25, 0
	s_and_saveexec_b32 s27, s26
	s_xor_b32 s26, exec_lo, s27
	s_cbranch_execz .LBB4_446
; %bb.278:                              ;   in Loop: Header=BB4_110 Depth=3
	v_cmp_eq_u16_sdwa s28, v83, v40 src0_sel:BYTE_0 src1_sel:DWORD
	s_mov_b32 s25, -1
	s_and_saveexec_b32 s27, s28
; %bb.279:                              ;   in Loop: Header=BB4_110 Depth=3
	s_xor_b32 s25, exec_lo, -1
; %bb.280:                              ;   in Loop: Header=BB4_110 Depth=3
	s_or_b32 exec_lo, exec_lo, s27
	s_and_b32 s25, s25, exec_lo
	s_or_saveexec_b32 s26, s26
	v_mov_b32_e32 v96, 0x7f800001
	s_xor_b32 exec_lo, exec_lo, s26
	s_cbranch_execnz .LBB4_447
.LBB4_281:                              ;   in Loop: Header=BB4_110 Depth=3
	s_or_b32 exec_lo, exec_lo, s26
	s_and_saveexec_b32 s26, s25
	s_cbranch_execz .LBB4_283
.LBB4_282:                              ;   in Loop: Header=BB4_110 Depth=3
	v_and_b32_e32 v96, 3, v83
	v_bfe_u32 v73, v83, 2, 5
	v_lshlrev_b32_e32 v74, 24, v83
	v_ffbh_u32_e32 v97, v96
	v_cmp_eq_u32_e32 vcc_lo, 0, v73
	v_min_u32_e32 v97, 32, v97
	v_subrev_nc_u32_e32 v72, 29, v97
	v_sub_nc_u32_e32 v97, 30, v97
	v_lshlrev_b32_e32 v72, v72, v83
	v_cndmask_b32_e32 v97, v73, v97, vcc_lo
	v_and_b32_e32 v72, 3, v72
	v_lshl_add_u32 v97, v97, 23, 0x37800000
	v_cndmask_b32_e32 v96, v96, v72, vcc_lo
	v_and_b32_e32 v72, 0x80000000, v74
	v_lshlrev_b32_e32 v96, 21, v96
	v_or3_b32 v96, v72, v97, v96
.LBB4_283:                              ;   in Loop: Header=BB4_110 Depth=3
	s_or_b32 exec_lo, exec_lo, s26
	v_max_f32_e32 v96, v96, v96
	v_max_f32_e32 v22, v22, v22
	;; [unrolled: 1-line block ×3, first 2 shown]
.LBB4_284:                              ;   in Loop: Header=BB4_110 Depth=3
	s_andn2_saveexec_b32 s12, s12
	s_cbranch_execz .LBB4_298
; %bb.285:                              ;   in Loop: Header=BB4_110 Depth=3
	v_cmp_gt_i16_sdwa s26, v21, v119 src0_sel:BYTE_0 src1_sel:DWORD
	s_mov_b32 s25, 0
	s_and_saveexec_b32 s27, s26
	s_xor_b32 s26, exec_lo, s27
	s_cbranch_execz .LBB4_448
; %bb.286:                              ;   in Loop: Header=BB4_110 Depth=3
	v_cmp_eq_u16_sdwa s28, v21, v40 src0_sel:BYTE_0 src1_sel:DWORD
	s_mov_b32 s25, -1
	s_and_saveexec_b32 s27, s28
; %bb.287:                              ;   in Loop: Header=BB4_110 Depth=3
	s_xor_b32 s25, exec_lo, -1
; %bb.288:                              ;   in Loop: Header=BB4_110 Depth=3
	s_or_b32 exec_lo, exec_lo, s27
	s_and_b32 s25, s25, exec_lo
	s_or_saveexec_b32 s26, s26
	v_mov_b32_e32 v22, 0x7f800001
	s_xor_b32 exec_lo, exec_lo, s26
	s_cbranch_execnz .LBB4_449
.LBB4_289:                              ;   in Loop: Header=BB4_110 Depth=3
	s_or_b32 exec_lo, exec_lo, s26
	s_and_saveexec_b32 s26, s25
	s_cbranch_execz .LBB4_291
.LBB4_290:                              ;   in Loop: Header=BB4_110 Depth=3
	v_and_b32_e32 v22, 3, v21
	v_bfe_u32 v72, v21, 2, 5
	v_lshlrev_b32_e32 v73, 24, v21
	v_ffbh_u32_e32 v96, v22
	v_cmp_eq_u32_e32 vcc_lo, 0, v72
	v_min_u32_e32 v96, 32, v96
	v_subrev_nc_u32_e32 v97, 29, v96
	v_sub_nc_u32_e32 v96, 30, v96
	v_lshlrev_b32_e32 v97, v97, v21
	v_cndmask_b32_e32 v96, v72, v96, vcc_lo
	v_and_b32_e32 v97, 3, v97
	v_lshl_add_u32 v96, v96, 23, 0x37800000
	v_cndmask_b32_e32 v22, v22, v97, vcc_lo
	v_and_b32_e32 v97, 0x80000000, v73
	v_lshlrev_b32_e32 v22, 21, v22
	v_or3_b32 v22, v97, v96, v22
.LBB4_291:                              ;   in Loop: Header=BB4_110 Depth=3
	s_or_b32 exec_lo, exec_lo, s26
	v_cmp_gt_i16_sdwa s26, v83, v119 src0_sel:BYTE_0 src1_sel:DWORD
	s_mov_b32 s25, 0
	s_and_saveexec_b32 s27, s26
	s_xor_b32 s26, exec_lo, s27
	s_cbranch_execz .LBB4_450
; %bb.292:                              ;   in Loop: Header=BB4_110 Depth=3
	v_cmp_eq_u16_sdwa s28, v83, v40 src0_sel:BYTE_0 src1_sel:DWORD
	s_mov_b32 s25, -1
	s_and_saveexec_b32 s27, s28
; %bb.293:                              ;   in Loop: Header=BB4_110 Depth=3
	s_xor_b32 s25, exec_lo, -1
; %bb.294:                              ;   in Loop: Header=BB4_110 Depth=3
	s_or_b32 exec_lo, exec_lo, s27
	s_and_b32 s25, s25, exec_lo
	s_or_saveexec_b32 s26, s26
	v_mov_b32_e32 v96, 0x7f800001
	s_xor_b32 exec_lo, exec_lo, s26
	s_cbranch_execnz .LBB4_451
.LBB4_295:                              ;   in Loop: Header=BB4_110 Depth=3
	s_or_b32 exec_lo, exec_lo, s26
	s_and_saveexec_b32 s26, s25
	s_cbranch_execz .LBB4_297
.LBB4_296:                              ;   in Loop: Header=BB4_110 Depth=3
	v_and_b32_e32 v96, 3, v83
	v_bfe_u32 v73, v83, 2, 5
	v_lshlrev_b32_e32 v74, 24, v83
	v_ffbh_u32_e32 v97, v96
	v_cmp_eq_u32_e32 vcc_lo, 0, v73
	v_min_u32_e32 v97, 32, v97
	v_subrev_nc_u32_e32 v72, 29, v97
	v_sub_nc_u32_e32 v97, 30, v97
	v_lshlrev_b32_e32 v72, v72, v83
	v_cndmask_b32_e32 v97, v73, v97, vcc_lo
	v_and_b32_e32 v72, 3, v72
	v_lshl_add_u32 v97, v97, 23, 0x37800000
	v_cndmask_b32_e32 v96, v96, v72, vcc_lo
	v_and_b32_e32 v72, 0x80000000, v74
	v_lshlrev_b32_e32 v96, 21, v96
	v_or3_b32 v96, v72, v97, v96
.LBB4_297:                              ;   in Loop: Header=BB4_110 Depth=3
	s_or_b32 exec_lo, exec_lo, s26
	v_max_f32_e32 v96, v96, v96
	v_max_f32_e32 v22, v22, v22
	v_min_f32_e32 v22, v22, v96
.LBB4_298:                              ;   in Loop: Header=BB4_110 Depth=3
	s_or_b32 exec_lo, exec_lo, s12
	v_and_b32_e32 v96, 0x7f800000, v22
	v_cmp_ne_u32_e32 vcc_lo, 0x7f800000, v96
	v_mov_b32_e32 v96, 0x80
	s_and_saveexec_b32 s25, vcc_lo
	s_cbranch_execz .LBB4_306
; %bb.299:                              ;   in Loop: Header=BB4_110 Depth=3
	v_mov_b32_e32 v96, 0
	s_mov_b32 s26, exec_lo
	v_cmpx_ne_u32_e32 0, v22
	s_cbranch_execz .LBB4_305
; %bb.300:                              ;   in Loop: Header=BB4_110 Depth=3
	v_bfe_u32 v96, v22, 23, 8
	v_and_b32_e32 v97, 0x7fffff, v22
	v_sub_nc_u32_e32 v72, 0x70, v96
	v_cmp_gt_u32_e32 vcc_lo, 0x71, v96
	v_or_b32_e32 v73, 0x800000, v97
	v_cndmask_b32_e32 v72, 0, v72, vcc_lo
	v_cmp_eq_u32_e32 vcc_lo, 0, v96
	v_add_nc_u32_e32 v96, 0xffffff91, v96
	v_cndmask_b32_e64 v72, v72, 0x6f, vcc_lo
	v_cndmask_b32_e32 v97, v73, v97, vcc_lo
	v_cndmask_b32_e64 v96, v96, 0xffffff92, vcc_lo
	v_lshl_add_u32 v73, 0x200000, v72, -1
	v_lshrrev_b32_e32 v74, v72, v97
	v_lshlrev_b32_e64 v76, v72, 0x100000
	v_add_nc_u32_e32 v72, v72, v96
	v_and_b32_e32 v97, v73, v97
	v_bfe_u32 v75, v74, 21, 1
	v_cmp_eq_u32_e64 s12, v97, v76
	v_add_nc_u32_e32 v73, -1, v75
	v_cndmask_b32_e64 v97, 0, v73, s12
	v_lshrrev_b32_e32 v73, 23, v74
	s_mov_b32 s12, exec_lo
	v_add_nc_u32_e32 v97, v97, v74
	v_xor_b32_e32 v73, 1, v73
	v_and_b32_e32 v96, 0x1fffff, v97
	v_add_nc_u32_e32 v97, v96, v74
                                        ; implicit-def: $vgpr96
	v_cmpx_ne_u32_e64 v72, v73
	s_xor_b32 s12, exec_lo, s12
; %bb.301:                              ;   in Loop: Header=BB4_110 Depth=3
	v_cmp_lt_u32_e32 vcc_lo, 0xffffff, v97
	v_sub_nc_u32_e32 v96, v72, v73
	v_cndmask_b32_e64 v72, 0, 1, vcc_lo
	v_add_co_ci_u32_e64 v96, null, 0, v96, vcc_lo
	v_lshrrev_b32_e32 v97, v72, v97
; %bb.302:                              ;   in Loop: Header=BB4_110 Depth=3
	s_andn2_saveexec_b32 s12, s12
; %bb.303:                              ;   in Loop: Header=BB4_110 Depth=3
	v_bfe_u32 v96, v97, 23, 1
; %bb.304:                              ;   in Loop: Header=BB4_110 Depth=3
	s_or_b32 exec_lo, exec_lo, s12
	v_lshrrev_b32_e32 v97, 21, v97
	v_min_i32_e32 v72, 31, v96
	v_cmp_gt_i32_e32 vcc_lo, 32, v96
	v_and_b32_sdwa v22, v22, v40 dst_sel:DWORD dst_unused:UNUSED_PAD src0_sel:BYTE_3 src1_sel:DWORD
	v_lshlrev_b32_e32 v72, 2, v72
	v_cndmask_b32_e32 v97, 3, v97, vcc_lo
	v_and_b32_e32 v72, 0xfc, v72
	v_and_b32_e32 v73, 3, v97
	v_or_b32_e32 v96, v96, v97
	v_or3_b32 v22, v72, v22, v73
	v_cmp_ne_u32_e32 vcc_lo, 0, v96
	v_cndmask_b32_e32 v96, 0, v22, vcc_lo
.LBB4_305:                              ;   in Loop: Header=BB4_110 Depth=3
	s_or_b32 exec_lo, exec_lo, s26
.LBB4_306:                              ;   in Loop: Header=BB4_110 Depth=3
	s_or_b32 exec_lo, exec_lo, s25
                                        ; implicit-def: $vgpr22
	s_and_saveexec_b32 s12, s9
	s_xor_b32 s12, exec_lo, s12
	s_cbranch_execz .LBB4_320
; %bb.307:                              ;   in Loop: Header=BB4_110 Depth=3
	v_cmp_gt_i16_sdwa s26, v21, v119 src0_sel:BYTE_1 src1_sel:DWORD
	s_mov_b32 s25, 0
	s_and_saveexec_b32 s27, s26
	s_xor_b32 s26, exec_lo, s27
	s_cbranch_execz .LBB4_452
; %bb.308:                              ;   in Loop: Header=BB4_110 Depth=3
	v_cmp_eq_u16_sdwa s28, v21, v40 src0_sel:BYTE_1 src1_sel:DWORD
	s_mov_b32 s25, -1
	s_and_saveexec_b32 s27, s28
; %bb.309:                              ;   in Loop: Header=BB4_110 Depth=3
	s_xor_b32 s25, exec_lo, -1
; %bb.310:                              ;   in Loop: Header=BB4_110 Depth=3
	s_or_b32 exec_lo, exec_lo, s27
	s_and_b32 s25, s25, exec_lo
	s_or_saveexec_b32 s26, s26
	v_mov_b32_e32 v22, 0x7f800001
	s_xor_b32 exec_lo, exec_lo, s26
	s_cbranch_execnz .LBB4_453
.LBB4_311:                              ;   in Loop: Header=BB4_110 Depth=3
	s_or_b32 exec_lo, exec_lo, s26
	s_and_saveexec_b32 s26, s25
	s_cbranch_execz .LBB4_313
.LBB4_312:                              ;   in Loop: Header=BB4_110 Depth=3
	v_and_b32_sdwa v22, v41, v21 dst_sel:DWORD dst_unused:UNUSED_PAD src0_sel:DWORD src1_sel:BYTE_1
	v_and_b32_e32 v97, 3, v22
	v_bfe_u32 v74, v22, 2, 5
	v_ffbh_u32_e32 v72, v97
	v_cmp_eq_u32_e32 vcc_lo, 0, v74
	v_min_u32_e32 v72, 32, v72
	v_subrev_nc_u32_e32 v73, 29, v72
	v_sub_nc_u32_e32 v72, 30, v72
	v_lshlrev_b32_e32 v22, v73, v22
	v_lshlrev_b32_e32 v73, 16, v21
	v_cndmask_b32_e32 v72, v74, v72, vcc_lo
	v_and_b32_e32 v22, 3, v22
	v_lshl_add_u32 v72, v72, 23, 0x37800000
	v_cndmask_b32_e32 v22, v97, v22, vcc_lo
	v_and_b32_e32 v97, 0x80000000, v73
	v_lshlrev_b32_e32 v22, 21, v22
	v_or3_b32 v22, v97, v72, v22
.LBB4_313:                              ;   in Loop: Header=BB4_110 Depth=3
	s_or_b32 exec_lo, exec_lo, s26
	v_cmp_gt_i16_sdwa s26, v83, v119 src0_sel:BYTE_1 src1_sel:DWORD
	s_mov_b32 s25, 0
	s_and_saveexec_b32 s27, s26
	s_xor_b32 s26, exec_lo, s27
	s_cbranch_execz .LBB4_454
; %bb.314:                              ;   in Loop: Header=BB4_110 Depth=3
	v_cmp_eq_u16_sdwa s28, v83, v40 src0_sel:BYTE_1 src1_sel:DWORD
	s_mov_b32 s25, -1
	s_and_saveexec_b32 s27, s28
; %bb.315:                              ;   in Loop: Header=BB4_110 Depth=3
	s_xor_b32 s25, exec_lo, -1
; %bb.316:                              ;   in Loop: Header=BB4_110 Depth=3
	s_or_b32 exec_lo, exec_lo, s27
	s_and_b32 s25, s25, exec_lo
	s_or_saveexec_b32 s26, s26
	v_mov_b32_e32 v97, 0x7f800001
	s_xor_b32 exec_lo, exec_lo, s26
	s_cbranch_execnz .LBB4_455
.LBB4_317:                              ;   in Loop: Header=BB4_110 Depth=3
	s_or_b32 exec_lo, exec_lo, s26
	s_and_saveexec_b32 s26, s25
	s_cbranch_execz .LBB4_319
.LBB4_318:                              ;   in Loop: Header=BB4_110 Depth=3
	v_and_b32_sdwa v97, v41, v83 dst_sel:DWORD dst_unused:UNUSED_PAD src0_sel:DWORD src1_sel:BYTE_1
	v_and_b32_e32 v72, 3, v97
	v_bfe_u32 v75, v97, 2, 5
	v_ffbh_u32_e32 v73, v72
	v_cmp_eq_u32_e32 vcc_lo, 0, v75
	v_min_u32_e32 v73, 32, v73
	v_subrev_nc_u32_e32 v74, 29, v73
	v_sub_nc_u32_e32 v73, 30, v73
	v_lshlrev_b32_e32 v97, v74, v97
	v_lshlrev_b32_e32 v74, 16, v83
	v_cndmask_b32_e32 v73, v75, v73, vcc_lo
	v_and_b32_e32 v97, 3, v97
	v_lshl_add_u32 v73, v73, 23, 0x37800000
	v_cndmask_b32_e32 v97, v72, v97, vcc_lo
	v_and_b32_e32 v72, 0x80000000, v74
	v_lshlrev_b32_e32 v97, 21, v97
	v_or3_b32 v97, v72, v73, v97
.LBB4_319:                              ;   in Loop: Header=BB4_110 Depth=3
	s_or_b32 exec_lo, exec_lo, s26
	v_max_f32_e32 v97, v97, v97
	v_max_f32_e32 v22, v22, v22
	;; [unrolled: 1-line block ×3, first 2 shown]
	s_andn2_saveexec_b32 s12, s12
	s_cbranch_execz .LBB4_334
	s_branch .LBB4_321
.LBB4_320:                              ;   in Loop: Header=BB4_110 Depth=3
	s_andn2_saveexec_b32 s12, s12
	s_cbranch_execz .LBB4_334
.LBB4_321:                              ;   in Loop: Header=BB4_110 Depth=3
	v_cmp_gt_i16_sdwa s26, v21, v119 src0_sel:BYTE_1 src1_sel:DWORD
	s_mov_b32 s25, 0
	s_and_saveexec_b32 s27, s26
	s_xor_b32 s26, exec_lo, s27
	s_cbranch_execz .LBB4_456
; %bb.322:                              ;   in Loop: Header=BB4_110 Depth=3
	v_cmp_eq_u16_sdwa s28, v21, v40 src0_sel:BYTE_1 src1_sel:DWORD
	s_mov_b32 s25, -1
	s_and_saveexec_b32 s27, s28
; %bb.323:                              ;   in Loop: Header=BB4_110 Depth=3
	s_xor_b32 s25, exec_lo, -1
; %bb.324:                              ;   in Loop: Header=BB4_110 Depth=3
	s_or_b32 exec_lo, exec_lo, s27
	s_and_b32 s25, s25, exec_lo
	s_or_saveexec_b32 s26, s26
	v_mov_b32_e32 v22, 0x7f800001
	s_xor_b32 exec_lo, exec_lo, s26
	s_cbranch_execnz .LBB4_457
.LBB4_325:                              ;   in Loop: Header=BB4_110 Depth=3
	s_or_b32 exec_lo, exec_lo, s26
	s_and_saveexec_b32 s26, s25
	s_cbranch_execz .LBB4_327
.LBB4_326:                              ;   in Loop: Header=BB4_110 Depth=3
	v_and_b32_sdwa v22, v41, v21 dst_sel:DWORD dst_unused:UNUSED_PAD src0_sel:DWORD src1_sel:BYTE_1
	v_and_b32_e32 v97, 3, v22
	v_bfe_u32 v74, v22, 2, 5
	v_ffbh_u32_e32 v72, v97
	v_cmp_eq_u32_e32 vcc_lo, 0, v74
	v_min_u32_e32 v72, 32, v72
	v_subrev_nc_u32_e32 v73, 29, v72
	v_sub_nc_u32_e32 v72, 30, v72
	v_lshlrev_b32_e32 v22, v73, v22
	v_lshlrev_b32_e32 v73, 16, v21
	v_cndmask_b32_e32 v72, v74, v72, vcc_lo
	v_and_b32_e32 v22, 3, v22
	v_lshl_add_u32 v72, v72, 23, 0x37800000
	v_cndmask_b32_e32 v22, v97, v22, vcc_lo
	v_and_b32_e32 v97, 0x80000000, v73
	v_lshlrev_b32_e32 v22, 21, v22
	v_or3_b32 v22, v97, v72, v22
.LBB4_327:                              ;   in Loop: Header=BB4_110 Depth=3
	s_or_b32 exec_lo, exec_lo, s26
	v_cmp_gt_i16_sdwa s26, v83, v119 src0_sel:BYTE_1 src1_sel:DWORD
	s_mov_b32 s25, 0
	s_and_saveexec_b32 s27, s26
	s_xor_b32 s26, exec_lo, s27
	s_cbranch_execz .LBB4_458
; %bb.328:                              ;   in Loop: Header=BB4_110 Depth=3
	v_cmp_eq_u16_sdwa s28, v83, v40 src0_sel:BYTE_1 src1_sel:DWORD
	s_mov_b32 s25, -1
	s_and_saveexec_b32 s27, s28
; %bb.329:                              ;   in Loop: Header=BB4_110 Depth=3
	s_xor_b32 s25, exec_lo, -1
; %bb.330:                              ;   in Loop: Header=BB4_110 Depth=3
	s_or_b32 exec_lo, exec_lo, s27
	s_and_b32 s25, s25, exec_lo
	s_or_saveexec_b32 s26, s26
	v_mov_b32_e32 v97, 0x7f800001
	s_xor_b32 exec_lo, exec_lo, s26
	s_cbranch_execnz .LBB4_459
.LBB4_331:                              ;   in Loop: Header=BB4_110 Depth=3
	s_or_b32 exec_lo, exec_lo, s26
	s_and_saveexec_b32 s26, s25
	s_cbranch_execz .LBB4_333
.LBB4_332:                              ;   in Loop: Header=BB4_110 Depth=3
	v_and_b32_sdwa v97, v41, v83 dst_sel:DWORD dst_unused:UNUSED_PAD src0_sel:DWORD src1_sel:BYTE_1
	v_and_b32_e32 v72, 3, v97
	v_bfe_u32 v75, v97, 2, 5
	v_ffbh_u32_e32 v73, v72
	v_cmp_eq_u32_e32 vcc_lo, 0, v75
	v_min_u32_e32 v73, 32, v73
	v_subrev_nc_u32_e32 v74, 29, v73
	v_sub_nc_u32_e32 v73, 30, v73
	v_lshlrev_b32_e32 v97, v74, v97
	v_lshlrev_b32_e32 v74, 16, v83
	v_cndmask_b32_e32 v73, v75, v73, vcc_lo
	v_and_b32_e32 v97, 3, v97
	v_lshl_add_u32 v73, v73, 23, 0x37800000
	v_cndmask_b32_e32 v97, v72, v97, vcc_lo
	v_and_b32_e32 v72, 0x80000000, v74
	v_lshlrev_b32_e32 v97, 21, v97
	v_or3_b32 v97, v72, v73, v97
.LBB4_333:                              ;   in Loop: Header=BB4_110 Depth=3
	s_or_b32 exec_lo, exec_lo, s26
	v_max_f32_e32 v97, v97, v97
	v_max_f32_e32 v22, v22, v22
	v_min_f32_e32 v22, v22, v97
.LBB4_334:                              ;   in Loop: Header=BB4_110 Depth=3
	s_or_b32 exec_lo, exec_lo, s12
	v_and_b32_e32 v97, 0x7f800000, v22
	v_cmp_ne_u32_e32 vcc_lo, 0x7f800000, v97
	v_mov_b32_e32 v97, 0x8000
	s_and_saveexec_b32 s25, vcc_lo
	s_cbranch_execz .LBB4_342
; %bb.335:                              ;   in Loop: Header=BB4_110 Depth=3
	v_mov_b32_e32 v97, 0
	s_mov_b32 s26, exec_lo
	v_cmpx_ne_u32_e32 0, v22
	s_cbranch_execz .LBB4_341
; %bb.336:                              ;   in Loop: Header=BB4_110 Depth=3
	v_bfe_u32 v97, v22, 23, 8
	v_and_b32_e32 v72, 0x7fffff, v22
	v_sub_nc_u32_e32 v73, 0x70, v97
	v_cmp_gt_u32_e32 vcc_lo, 0x71, v97
	v_or_b32_e32 v74, 0x800000, v72
	v_cndmask_b32_e32 v73, 0, v73, vcc_lo
	v_cmp_eq_u32_e32 vcc_lo, 0, v97
	v_add_nc_u32_e32 v97, 0xffffff91, v97
	v_cndmask_b32_e64 v73, v73, 0x6f, vcc_lo
	v_cndmask_b32_e32 v72, v74, v72, vcc_lo
	v_cndmask_b32_e64 v97, v97, 0xffffff92, vcc_lo
	v_lshl_add_u32 v74, 0x200000, v73, -1
	v_lshrrev_b32_e32 v75, v73, v72
	v_lshlrev_b32_e64 v77, v73, 0x100000
	v_add_nc_u32_e32 v73, v73, v97
	v_and_b32_e32 v72, v74, v72
	v_bfe_u32 v76, v75, 21, 1
	v_cmp_eq_u32_e64 s12, v72, v77
	v_add_nc_u32_e32 v74, -1, v76
	v_cndmask_b32_e64 v72, 0, v74, s12
	v_lshrrev_b32_e32 v74, 23, v75
	s_mov_b32 s12, exec_lo
	v_add_nc_u32_e32 v72, v72, v75
	v_xor_b32_e32 v74, 1, v74
	v_and_b32_e32 v97, 0x1fffff, v72
	v_add_nc_u32_e32 v72, v97, v75
                                        ; implicit-def: $vgpr97
	v_cmpx_ne_u32_e64 v73, v74
	s_xor_b32 s12, exec_lo, s12
; %bb.337:                              ;   in Loop: Header=BB4_110 Depth=3
	v_cmp_lt_u32_e32 vcc_lo, 0xffffff, v72
	v_sub_nc_u32_e32 v97, v73, v74
	v_cndmask_b32_e64 v73, 0, 1, vcc_lo
	v_add_co_ci_u32_e64 v97, null, 0, v97, vcc_lo
	v_lshrrev_b32_e32 v72, v73, v72
; %bb.338:                              ;   in Loop: Header=BB4_110 Depth=3
	s_andn2_saveexec_b32 s12, s12
; %bb.339:                              ;   in Loop: Header=BB4_110 Depth=3
	v_bfe_u32 v97, v72, 23, 1
; %bb.340:                              ;   in Loop: Header=BB4_110 Depth=3
	s_or_b32 exec_lo, exec_lo, s12
	v_lshrrev_b32_e32 v72, 21, v72
	v_min_i32_e32 v73, 31, v97
	v_cmp_gt_i32_e32 vcc_lo, 32, v97
	v_and_b32_sdwa v22, v22, v40 dst_sel:DWORD dst_unused:UNUSED_PAD src0_sel:BYTE_3 src1_sel:DWORD
	v_lshlrev_b32_e32 v73, 2, v73
	v_cndmask_b32_e32 v72, 3, v72, vcc_lo
	v_and_b32_e32 v73, 0xfc, v73
	v_and_b32_e32 v74, 3, v72
	v_or_b32_e32 v97, v97, v72
	v_or3_b32 v22, v22, v73, v74
	v_cmp_ne_u32_e32 vcc_lo, 0, v97
	v_lshlrev_b32_e32 v22, 8, v22
	v_cndmask_b32_e32 v97, 0, v22, vcc_lo
.LBB4_341:                              ;   in Loop: Header=BB4_110 Depth=3
	s_or_b32 exec_lo, exec_lo, s26
.LBB4_342:                              ;   in Loop: Header=BB4_110 Depth=3
	s_or_b32 exec_lo, exec_lo, s25
                                        ; implicit-def: $vgpr22
	s_and_saveexec_b32 s12, s9
	s_xor_b32 s12, exec_lo, s12
	s_cbranch_execz .LBB4_356
; %bb.343:                              ;   in Loop: Header=BB4_110 Depth=3
	v_and_b32_sdwa v72, v21, v42 dst_sel:DWORD dst_unused:UNUSED_PAD src0_sel:WORD_1 src1_sel:DWORD
	s_mov_b32 s25, 0
	s_mov_b32 s26, exec_lo
	v_cmpx_lt_i16_e32 0x7f, v72
	s_xor_b32 s26, exec_lo, s26
	s_cbranch_execz .LBB4_460
; %bb.344:                              ;   in Loop: Header=BB4_110 Depth=3
	s_mov_b32 s25, -1
	s_mov_b32 s27, exec_lo
	v_cmpx_eq_u16_e32 0x80, v72
; %bb.345:                              ;   in Loop: Header=BB4_110 Depth=3
	s_xor_b32 s25, exec_lo, -1
; %bb.346:                              ;   in Loop: Header=BB4_110 Depth=3
	s_or_b32 exec_lo, exec_lo, s27
	s_and_b32 s25, s25, exec_lo
                                        ; implicit-def: $vgpr72
	s_or_saveexec_b32 s26, s26
	v_mov_b32_e32 v22, 0x7f800001
	s_xor_b32 exec_lo, exec_lo, s26
	s_cbranch_execnz .LBB4_461
.LBB4_347:                              ;   in Loop: Header=BB4_110 Depth=3
	s_or_b32 exec_lo, exec_lo, s26
	s_and_saveexec_b32 s26, s25
	s_cbranch_execz .LBB4_349
.LBB4_348:                              ;   in Loop: Header=BB4_110 Depth=3
	v_bfe_u32 v22, v21, 16, 2
	v_bfe_u32 v74, v21, 18, 5
	v_lshlrev_b32_sdwa v75, v43, v21 dst_sel:DWORD dst_unused:UNUSED_PAD src0_sel:DWORD src1_sel:WORD_1
	v_ffbh_u32_e32 v72, v22
	v_cmp_eq_u32_e32 vcc_lo, 0, v74
	v_min_u32_e32 v72, 32, v72
	v_subrev_nc_u32_e32 v73, 29, v72
	v_sub_nc_u32_e32 v72, 30, v72
	v_lshlrev_b32_sdwa v73, v73, v21 dst_sel:DWORD dst_unused:UNUSED_PAD src0_sel:DWORD src1_sel:WORD_1
	v_cndmask_b32_e32 v72, v74, v72, vcc_lo
	v_and_b32_e32 v73, 3, v73
	v_lshl_add_u32 v72, v72, 23, 0x37800000
	v_cndmask_b32_e32 v22, v22, v73, vcc_lo
	v_and_b32_e32 v73, 0x80000000, v75
	v_lshlrev_b32_e32 v22, 21, v22
	v_or3_b32 v22, v73, v72, v22
.LBB4_349:                              ;   in Loop: Header=BB4_110 Depth=3
	s_or_b32 exec_lo, exec_lo, s26
	v_and_b32_sdwa v73, v83, v42 dst_sel:DWORD dst_unused:UNUSED_PAD src0_sel:WORD_1 src1_sel:DWORD
	s_mov_b32 s25, 0
	s_mov_b32 s26, exec_lo
	v_cmpx_lt_i16_e32 0x7f, v73
	s_xor_b32 s26, exec_lo, s26
	s_cbranch_execz .LBB4_462
; %bb.350:                              ;   in Loop: Header=BB4_110 Depth=3
	s_mov_b32 s25, -1
	s_mov_b32 s27, exec_lo
	v_cmpx_eq_u16_e32 0x80, v73
; %bb.351:                              ;   in Loop: Header=BB4_110 Depth=3
	s_xor_b32 s25, exec_lo, -1
; %bb.352:                              ;   in Loop: Header=BB4_110 Depth=3
	s_or_b32 exec_lo, exec_lo, s27
	s_and_b32 s25, s25, exec_lo
                                        ; implicit-def: $vgpr73
	s_or_saveexec_b32 s26, s26
	v_mov_b32_e32 v72, 0x7f800001
	s_xor_b32 exec_lo, exec_lo, s26
	s_cbranch_execnz .LBB4_463
.LBB4_353:                              ;   in Loop: Header=BB4_110 Depth=3
	s_or_b32 exec_lo, exec_lo, s26
	s_and_saveexec_b32 s26, s25
	s_cbranch_execz .LBB4_355
.LBB4_354:                              ;   in Loop: Header=BB4_110 Depth=3
	v_bfe_u32 v72, v83, 16, 2
	v_bfe_u32 v75, v83, 18, 5
	v_lshlrev_b32_sdwa v76, v43, v83 dst_sel:DWORD dst_unused:UNUSED_PAD src0_sel:DWORD src1_sel:WORD_1
	v_ffbh_u32_e32 v73, v72
	v_cmp_eq_u32_e32 vcc_lo, 0, v75
	v_min_u32_e32 v73, 32, v73
	v_subrev_nc_u32_e32 v74, 29, v73
	v_sub_nc_u32_e32 v73, 30, v73
	v_lshlrev_b32_sdwa v74, v74, v83 dst_sel:DWORD dst_unused:UNUSED_PAD src0_sel:DWORD src1_sel:WORD_1
	v_cndmask_b32_e32 v73, v75, v73, vcc_lo
	v_and_b32_e32 v74, 3, v74
	v_lshl_add_u32 v73, v73, 23, 0x37800000
	v_cndmask_b32_e32 v72, v72, v74, vcc_lo
	v_and_b32_e32 v74, 0x80000000, v76
	v_lshlrev_b32_e32 v72, 21, v72
	v_or3_b32 v72, v74, v73, v72
.LBB4_355:                              ;   in Loop: Header=BB4_110 Depth=3
	s_or_b32 exec_lo, exec_lo, s26
	v_max_f32_e32 v72, v72, v72
	v_max_f32_e32 v22, v22, v22
	;; [unrolled: 1-line block ×3, first 2 shown]
	s_andn2_saveexec_b32 s12, s12
	s_cbranch_execz .LBB4_370
	s_branch .LBB4_357
.LBB4_356:                              ;   in Loop: Header=BB4_110 Depth=3
	s_andn2_saveexec_b32 s12, s12
	s_cbranch_execz .LBB4_370
.LBB4_357:                              ;   in Loop: Header=BB4_110 Depth=3
	v_and_b32_sdwa v72, v21, v42 dst_sel:DWORD dst_unused:UNUSED_PAD src0_sel:WORD_1 src1_sel:DWORD
	s_mov_b32 s25, 0
	s_mov_b32 s26, exec_lo
	v_cmpx_lt_i16_e32 0x7f, v72
	s_xor_b32 s26, exec_lo, s26
	s_cbranch_execz .LBB4_464
; %bb.358:                              ;   in Loop: Header=BB4_110 Depth=3
	s_mov_b32 s25, -1
	s_mov_b32 s27, exec_lo
	v_cmpx_eq_u16_e32 0x80, v72
; %bb.359:                              ;   in Loop: Header=BB4_110 Depth=3
	s_xor_b32 s25, exec_lo, -1
; %bb.360:                              ;   in Loop: Header=BB4_110 Depth=3
	s_or_b32 exec_lo, exec_lo, s27
	s_and_b32 s25, s25, exec_lo
                                        ; implicit-def: $vgpr72
	s_or_saveexec_b32 s26, s26
	v_mov_b32_e32 v22, 0x7f800001
	s_xor_b32 exec_lo, exec_lo, s26
	s_cbranch_execnz .LBB4_465
.LBB4_361:                              ;   in Loop: Header=BB4_110 Depth=3
	s_or_b32 exec_lo, exec_lo, s26
	s_and_saveexec_b32 s26, s25
	s_cbranch_execz .LBB4_363
.LBB4_362:                              ;   in Loop: Header=BB4_110 Depth=3
	v_bfe_u32 v22, v21, 16, 2
	v_bfe_u32 v74, v21, 18, 5
	v_lshlrev_b32_sdwa v75, v43, v21 dst_sel:DWORD dst_unused:UNUSED_PAD src0_sel:DWORD src1_sel:WORD_1
	v_ffbh_u32_e32 v72, v22
	v_cmp_eq_u32_e32 vcc_lo, 0, v74
	v_min_u32_e32 v72, 32, v72
	v_subrev_nc_u32_e32 v73, 29, v72
	v_sub_nc_u32_e32 v72, 30, v72
	v_lshlrev_b32_sdwa v73, v73, v21 dst_sel:DWORD dst_unused:UNUSED_PAD src0_sel:DWORD src1_sel:WORD_1
	v_cndmask_b32_e32 v72, v74, v72, vcc_lo
	v_and_b32_e32 v73, 3, v73
	v_lshl_add_u32 v72, v72, 23, 0x37800000
	v_cndmask_b32_e32 v22, v22, v73, vcc_lo
	v_and_b32_e32 v73, 0x80000000, v75
	v_lshlrev_b32_e32 v22, 21, v22
	v_or3_b32 v22, v73, v72, v22
.LBB4_363:                              ;   in Loop: Header=BB4_110 Depth=3
	s_or_b32 exec_lo, exec_lo, s26
	v_and_b32_sdwa v73, v83, v42 dst_sel:DWORD dst_unused:UNUSED_PAD src0_sel:WORD_1 src1_sel:DWORD
	s_mov_b32 s25, 0
	s_mov_b32 s26, exec_lo
	v_cmpx_lt_i16_e32 0x7f, v73
	s_xor_b32 s26, exec_lo, s26
	s_cbranch_execz .LBB4_466
; %bb.364:                              ;   in Loop: Header=BB4_110 Depth=3
	s_mov_b32 s25, -1
	s_mov_b32 s27, exec_lo
	v_cmpx_eq_u16_e32 0x80, v73
; %bb.365:                              ;   in Loop: Header=BB4_110 Depth=3
	s_xor_b32 s25, exec_lo, -1
; %bb.366:                              ;   in Loop: Header=BB4_110 Depth=3
	s_or_b32 exec_lo, exec_lo, s27
	s_and_b32 s25, s25, exec_lo
                                        ; implicit-def: $vgpr73
	s_or_saveexec_b32 s26, s26
	v_mov_b32_e32 v72, 0x7f800001
	s_xor_b32 exec_lo, exec_lo, s26
	s_cbranch_execnz .LBB4_467
.LBB4_367:                              ;   in Loop: Header=BB4_110 Depth=3
	s_or_b32 exec_lo, exec_lo, s26
	s_and_saveexec_b32 s26, s25
	s_cbranch_execz .LBB4_369
.LBB4_368:                              ;   in Loop: Header=BB4_110 Depth=3
	v_bfe_u32 v72, v83, 16, 2
	v_bfe_u32 v75, v83, 18, 5
	v_lshlrev_b32_sdwa v76, v43, v83 dst_sel:DWORD dst_unused:UNUSED_PAD src0_sel:DWORD src1_sel:WORD_1
	v_ffbh_u32_e32 v73, v72
	v_cmp_eq_u32_e32 vcc_lo, 0, v75
	v_min_u32_e32 v73, 32, v73
	v_subrev_nc_u32_e32 v74, 29, v73
	v_sub_nc_u32_e32 v73, 30, v73
	v_lshlrev_b32_sdwa v74, v74, v83 dst_sel:DWORD dst_unused:UNUSED_PAD src0_sel:DWORD src1_sel:WORD_1
	v_cndmask_b32_e32 v73, v75, v73, vcc_lo
	v_and_b32_e32 v74, 3, v74
	v_lshl_add_u32 v73, v73, 23, 0x37800000
	v_cndmask_b32_e32 v72, v72, v74, vcc_lo
	v_and_b32_e32 v74, 0x80000000, v76
	v_lshlrev_b32_e32 v72, 21, v72
	v_or3_b32 v72, v74, v73, v72
.LBB4_369:                              ;   in Loop: Header=BB4_110 Depth=3
	s_or_b32 exec_lo, exec_lo, s26
	v_max_f32_e32 v72, v72, v72
	v_max_f32_e32 v22, v22, v22
	v_min_f32_e32 v22, v22, v72
.LBB4_370:                              ;   in Loop: Header=BB4_110 Depth=3
	s_or_b32 exec_lo, exec_lo, s12
	v_and_b32_e32 v72, 0x7f800000, v22
	v_cmp_ne_u32_e32 vcc_lo, 0x7f800000, v72
	v_mov_b32_e32 v72, 0x80
	s_and_saveexec_b32 s25, vcc_lo
	s_cbranch_execz .LBB4_378
; %bb.371:                              ;   in Loop: Header=BB4_110 Depth=3
	v_mov_b32_e32 v72, 0
	s_mov_b32 s26, exec_lo
	v_cmpx_ne_u32_e32 0, v22
	s_cbranch_execz .LBB4_377
; %bb.372:                              ;   in Loop: Header=BB4_110 Depth=3
	v_bfe_u32 v72, v22, 23, 8
	v_and_b32_e32 v73, 0x7fffff, v22
	v_sub_nc_u32_e32 v74, 0x70, v72
	v_cmp_gt_u32_e32 vcc_lo, 0x71, v72
	v_or_b32_e32 v75, 0x800000, v73
	v_cndmask_b32_e32 v74, 0, v74, vcc_lo
	v_cmp_eq_u32_e32 vcc_lo, 0, v72
	v_add_nc_u32_e32 v72, 0xffffff91, v72
	v_cndmask_b32_e64 v74, v74, 0x6f, vcc_lo
	v_cndmask_b32_e32 v73, v75, v73, vcc_lo
	v_cndmask_b32_e64 v72, v72, 0xffffff92, vcc_lo
	v_lshl_add_u32 v75, 0x200000, v74, -1
	v_lshrrev_b32_e32 v76, v74, v73
	v_lshlrev_b32_e64 v78, v74, 0x100000
	v_add_nc_u32_e32 v74, v74, v72
	v_and_b32_e32 v73, v75, v73
	v_bfe_u32 v77, v76, 21, 1
	v_cmp_eq_u32_e64 s12, v73, v78
	v_add_nc_u32_e32 v75, -1, v77
	v_cndmask_b32_e64 v73, 0, v75, s12
	v_lshrrev_b32_e32 v75, 23, v76
	s_mov_b32 s12, exec_lo
	v_add_nc_u32_e32 v73, v73, v76
	v_xor_b32_e32 v75, 1, v75
	v_and_b32_e32 v72, 0x1fffff, v73
	v_add_nc_u32_e32 v73, v72, v76
                                        ; implicit-def: $vgpr72
	v_cmpx_ne_u32_e64 v74, v75
	s_xor_b32 s12, exec_lo, s12
; %bb.373:                              ;   in Loop: Header=BB4_110 Depth=3
	v_cmp_lt_u32_e32 vcc_lo, 0xffffff, v73
	v_sub_nc_u32_e32 v72, v74, v75
	v_cndmask_b32_e64 v74, 0, 1, vcc_lo
	v_add_co_ci_u32_e64 v72, null, 0, v72, vcc_lo
	v_lshrrev_b32_e32 v73, v74, v73
; %bb.374:                              ;   in Loop: Header=BB4_110 Depth=3
	s_andn2_saveexec_b32 s12, s12
; %bb.375:                              ;   in Loop: Header=BB4_110 Depth=3
	v_bfe_u32 v72, v73, 23, 1
; %bb.376:                              ;   in Loop: Header=BB4_110 Depth=3
	s_or_b32 exec_lo, exec_lo, s12
	v_lshrrev_b32_e32 v73, 21, v73
	v_min_i32_e32 v74, 31, v72
	v_cmp_gt_i32_e32 vcc_lo, 32, v72
	v_and_b32_sdwa v22, v22, v40 dst_sel:DWORD dst_unused:UNUSED_PAD src0_sel:BYTE_3 src1_sel:DWORD
	v_lshlrev_b32_e32 v74, 2, v74
	v_cndmask_b32_e32 v73, 3, v73, vcc_lo
	v_and_b32_e32 v74, 0xfc, v74
	v_and_b32_e32 v75, 3, v73
	v_or_b32_e32 v72, v72, v73
	v_or3_b32 v22, v74, v22, v75
	v_cmp_ne_u32_e32 vcc_lo, 0, v72
	v_cndmask_b32_e32 v72, 0, v22, vcc_lo
.LBB4_377:                              ;   in Loop: Header=BB4_110 Depth=3
	s_or_b32 exec_lo, exec_lo, s26
.LBB4_378:                              ;   in Loop: Header=BB4_110 Depth=3
	s_or_b32 exec_lo, exec_lo, s25
                                        ; implicit-def: $vgpr73
	s_and_saveexec_b32 s12, s9
	s_xor_b32 s12, exec_lo, s12
	s_cbranch_execz .LBB4_392
; %bb.379:                              ;   in Loop: Header=BB4_110 Depth=3
	v_cmp_gt_i16_sdwa s26, v21, v119 src0_sel:BYTE_3 src1_sel:DWORD
	s_mov_b32 s25, 0
	s_and_saveexec_b32 s27, s26
	s_xor_b32 s26, exec_lo, s27
	s_cbranch_execz .LBB4_468
; %bb.380:                              ;   in Loop: Header=BB4_110 Depth=3
	v_cmp_eq_u16_sdwa s28, v21, v40 src0_sel:BYTE_3 src1_sel:DWORD
	s_mov_b32 s25, -1
	s_and_saveexec_b32 s27, s28
; %bb.381:                              ;   in Loop: Header=BB4_110 Depth=3
	s_xor_b32 s25, exec_lo, -1
; %bb.382:                              ;   in Loop: Header=BB4_110 Depth=3
	s_or_b32 exec_lo, exec_lo, s27
	s_and_b32 s25, s25, exec_lo
	s_or_saveexec_b32 s26, s26
	v_mov_b32_e32 v22, 0x7f800001
	s_xor_b32 exec_lo, exec_lo, s26
	s_cbranch_execnz .LBB4_469
.LBB4_383:                              ;   in Loop: Header=BB4_110 Depth=3
	s_or_b32 exec_lo, exec_lo, s26
	s_and_saveexec_b32 s26, s25
	s_cbranch_execz .LBB4_385
.LBB4_384:                              ;   in Loop: Header=BB4_110 Depth=3
	v_bfe_u32 v22, v21, 24, 2
	v_bfe_u32 v75, v21, 26, 5
	v_ffbh_u32_e32 v73, v22
	v_cmp_eq_u32_e32 vcc_lo, 0, v75
	v_min_u32_e32 v73, 32, v73
	v_subrev_nc_u32_e32 v74, 29, v73
	v_sub_nc_u32_e32 v73, 30, v73
	v_lshlrev_b32_sdwa v74, v74, v21 dst_sel:DWORD dst_unused:UNUSED_PAD src0_sel:DWORD src1_sel:BYTE_3
	v_cndmask_b32_e32 v73, v75, v73, vcc_lo
	v_and_b32_e32 v21, 0x80000000, v21
	v_and_b32_e32 v74, 3, v74
	v_lshl_add_u32 v73, v73, 23, 0x37800000
	v_cndmask_b32_e32 v22, v22, v74, vcc_lo
	v_lshlrev_b32_e32 v22, 21, v22
	v_or3_b32 v22, v21, v73, v22
.LBB4_385:                              ;   in Loop: Header=BB4_110 Depth=3
	s_or_b32 exec_lo, exec_lo, s26
	v_cmp_gt_i16_sdwa s26, v83, v119 src0_sel:BYTE_3 src1_sel:DWORD
	s_mov_b32 s25, 0
	s_and_saveexec_b32 s27, s26
	s_xor_b32 s26, exec_lo, s27
	s_cbranch_execz .LBB4_470
; %bb.386:                              ;   in Loop: Header=BB4_110 Depth=3
	v_cmp_eq_u16_sdwa s28, v83, v40 src0_sel:BYTE_3 src1_sel:DWORD
	s_mov_b32 s25, -1
	s_and_saveexec_b32 s27, s28
; %bb.387:                              ;   in Loop: Header=BB4_110 Depth=3
	s_xor_b32 s25, exec_lo, -1
; %bb.388:                              ;   in Loop: Header=BB4_110 Depth=3
	s_or_b32 exec_lo, exec_lo, s27
	s_and_b32 s25, s25, exec_lo
	s_or_saveexec_b32 s26, s26
	v_mov_b32_e32 v21, 0x7f800001
	s_xor_b32 exec_lo, exec_lo, s26
	s_cbranch_execnz .LBB4_471
.LBB4_389:                              ;   in Loop: Header=BB4_110 Depth=3
	s_or_b32 exec_lo, exec_lo, s26
	s_and_saveexec_b32 s26, s25
	s_cbranch_execz .LBB4_391
.LBB4_390:                              ;   in Loop: Header=BB4_110 Depth=3
	v_bfe_u32 v21, v83, 24, 2
	v_bfe_u32 v75, v83, 26, 5
	v_ffbh_u32_e32 v73, v21
	v_cmp_eq_u32_e32 vcc_lo, 0, v75
	v_min_u32_e32 v73, 32, v73
	v_subrev_nc_u32_e32 v74, 29, v73
	v_sub_nc_u32_e32 v73, 30, v73
	v_lshlrev_b32_sdwa v74, v74, v83 dst_sel:DWORD dst_unused:UNUSED_PAD src0_sel:DWORD src1_sel:BYTE_3
	v_cndmask_b32_e32 v73, v75, v73, vcc_lo
	v_and_b32_e32 v83, 0x80000000, v83
	v_and_b32_e32 v74, 3, v74
	v_lshl_add_u32 v73, v73, 23, 0x37800000
	v_cndmask_b32_e32 v21, v21, v74, vcc_lo
	v_lshlrev_b32_e32 v21, 21, v21
	v_or3_b32 v21, v83, v73, v21
.LBB4_391:                              ;   in Loop: Header=BB4_110 Depth=3
	s_or_b32 exec_lo, exec_lo, s26
	v_max_f32_e32 v21, v21, v21
	v_max_f32_e32 v22, v22, v22
                                        ; implicit-def: $vgpr83
	v_max_f32_e32 v73, v22, v21
                                        ; implicit-def: $vgpr21_vgpr22
	s_andn2_saveexec_b32 s12, s12
	s_cbranch_execz .LBB4_406
	s_branch .LBB4_393
.LBB4_392:                              ;   in Loop: Header=BB4_110 Depth=3
	s_andn2_saveexec_b32 s12, s12
	s_cbranch_execz .LBB4_406
.LBB4_393:                              ;   in Loop: Header=BB4_110 Depth=3
	v_cmp_gt_i16_sdwa s26, v21, v119 src0_sel:BYTE_3 src1_sel:DWORD
	s_mov_b32 s25, 0
	s_and_saveexec_b32 s27, s26
	s_xor_b32 s26, exec_lo, s27
	s_cbranch_execz .LBB4_472
; %bb.394:                              ;   in Loop: Header=BB4_110 Depth=3
	v_cmp_eq_u16_sdwa s28, v21, v40 src0_sel:BYTE_3 src1_sel:DWORD
	s_mov_b32 s25, -1
	s_and_saveexec_b32 s27, s28
; %bb.395:                              ;   in Loop: Header=BB4_110 Depth=3
	s_xor_b32 s25, exec_lo, -1
; %bb.396:                              ;   in Loop: Header=BB4_110 Depth=3
	s_or_b32 exec_lo, exec_lo, s27
	s_and_b32 s25, s25, exec_lo
	s_or_saveexec_b32 s26, s26
	v_mov_b32_e32 v22, 0x7f800001
	s_xor_b32 exec_lo, exec_lo, s26
	s_cbranch_execnz .LBB4_473
.LBB4_397:                              ;   in Loop: Header=BB4_110 Depth=3
	s_or_b32 exec_lo, exec_lo, s26
	s_and_saveexec_b32 s26, s25
	s_cbranch_execz .LBB4_399
.LBB4_398:                              ;   in Loop: Header=BB4_110 Depth=3
	v_bfe_u32 v22, v21, 24, 2
	v_bfe_u32 v75, v21, 26, 5
	v_ffbh_u32_e32 v73, v22
	v_cmp_eq_u32_e32 vcc_lo, 0, v75
	v_min_u32_e32 v73, 32, v73
	v_subrev_nc_u32_e32 v74, 29, v73
	v_sub_nc_u32_e32 v73, 30, v73
	v_lshlrev_b32_sdwa v74, v74, v21 dst_sel:DWORD dst_unused:UNUSED_PAD src0_sel:DWORD src1_sel:BYTE_3
	v_cndmask_b32_e32 v73, v75, v73, vcc_lo
	v_and_b32_e32 v21, 0x80000000, v21
	v_and_b32_e32 v74, 3, v74
	v_lshl_add_u32 v73, v73, 23, 0x37800000
	v_cndmask_b32_e32 v22, v22, v74, vcc_lo
	v_lshlrev_b32_e32 v22, 21, v22
	v_or3_b32 v22, v21, v73, v22
.LBB4_399:                              ;   in Loop: Header=BB4_110 Depth=3
	s_or_b32 exec_lo, exec_lo, s26
	v_cmp_gt_i16_sdwa s26, v83, v119 src0_sel:BYTE_3 src1_sel:DWORD
	s_mov_b32 s25, 0
	s_and_saveexec_b32 s27, s26
	s_xor_b32 s26, exec_lo, s27
	s_cbranch_execz .LBB4_474
; %bb.400:                              ;   in Loop: Header=BB4_110 Depth=3
	v_cmp_eq_u16_sdwa s28, v83, v40 src0_sel:BYTE_3 src1_sel:DWORD
	s_mov_b32 s25, -1
	s_and_saveexec_b32 s27, s28
; %bb.401:                              ;   in Loop: Header=BB4_110 Depth=3
	s_xor_b32 s25, exec_lo, -1
; %bb.402:                              ;   in Loop: Header=BB4_110 Depth=3
	s_or_b32 exec_lo, exec_lo, s27
	s_and_b32 s25, s25, exec_lo
	s_or_saveexec_b32 s26, s26
	v_mov_b32_e32 v21, 0x7f800001
	s_xor_b32 exec_lo, exec_lo, s26
	s_cbranch_execnz .LBB4_475
.LBB4_403:                              ;   in Loop: Header=BB4_110 Depth=3
	s_or_b32 exec_lo, exec_lo, s26
	s_and_saveexec_b32 s26, s25
	s_cbranch_execz .LBB4_405
.LBB4_404:                              ;   in Loop: Header=BB4_110 Depth=3
	v_bfe_u32 v21, v83, 24, 2
	v_bfe_u32 v75, v83, 26, 5
	v_ffbh_u32_e32 v73, v21
	v_cmp_eq_u32_e32 vcc_lo, 0, v75
	v_min_u32_e32 v73, 32, v73
	v_subrev_nc_u32_e32 v74, 29, v73
	v_sub_nc_u32_e32 v73, 30, v73
	v_lshlrev_b32_sdwa v74, v74, v83 dst_sel:DWORD dst_unused:UNUSED_PAD src0_sel:DWORD src1_sel:BYTE_3
	v_cndmask_b32_e32 v73, v75, v73, vcc_lo
	v_and_b32_e32 v83, 0x80000000, v83
	v_and_b32_e32 v74, 3, v74
	v_lshl_add_u32 v73, v73, 23, 0x37800000
	v_cndmask_b32_e32 v21, v21, v74, vcc_lo
	v_lshlrev_b32_e32 v21, 21, v21
	v_or3_b32 v21, v83, v73, v21
.LBB4_405:                              ;   in Loop: Header=BB4_110 Depth=3
	s_or_b32 exec_lo, exec_lo, s26
	v_max_f32_e32 v21, v21, v21
	v_max_f32_e32 v22, v22, v22
	v_min_f32_e32 v73, v22, v21
.LBB4_406:                              ;   in Loop: Header=BB4_110 Depth=3
	s_or_b32 exec_lo, exec_lo, s12
	v_and_b32_e32 v21, 0x7f800000, v73
	v_cmp_ne_u32_e32 vcc_lo, 0x7f800000, v21
	v_mov_b32_e32 v21, 0x8000
	s_and_saveexec_b32 s25, vcc_lo
	s_cbranch_execz .LBB4_109
; %bb.407:                              ;   in Loop: Header=BB4_110 Depth=3
	v_mov_b32_e32 v21, 0
	s_mov_b32 s26, exec_lo
	v_cmpx_ne_u32_e32 0, v73
	s_cbranch_execz .LBB4_108
; %bb.408:                              ;   in Loop: Header=BB4_110 Depth=3
	v_bfe_u32 v21, v73, 23, 8
	v_and_b32_e32 v22, 0x7fffff, v73
	v_sub_nc_u32_e32 v83, 0x70, v21
	v_cmp_gt_u32_e32 vcc_lo, 0x71, v21
	v_or_b32_e32 v74, 0x800000, v22
	v_cndmask_b32_e32 v83, 0, v83, vcc_lo
	v_cmp_eq_u32_e32 vcc_lo, 0, v21
	v_add_nc_u32_e32 v21, 0xffffff91, v21
	v_cndmask_b32_e64 v83, v83, 0x6f, vcc_lo
	v_cndmask_b32_e32 v22, v74, v22, vcc_lo
	v_cndmask_b32_e64 v21, v21, 0xffffff92, vcc_lo
	v_lshl_add_u32 v74, 0x200000, v83, -1
	v_lshrrev_b32_e32 v75, v83, v22
	v_lshlrev_b32_e64 v77, v83, 0x100000
	v_add_nc_u32_e32 v83, v83, v21
	v_and_b32_e32 v22, v74, v22
	v_bfe_u32 v76, v75, 21, 1
	v_cmp_eq_u32_e64 s12, v22, v77
	v_add_nc_u32_e32 v74, -1, v76
	v_cndmask_b32_e64 v22, 0, v74, s12
	v_lshrrev_b32_e32 v74, 23, v75
	s_mov_b32 s12, exec_lo
	v_add_nc_u32_e32 v22, v22, v75
	v_xor_b32_e32 v74, 1, v74
	v_and_b32_e32 v21, 0x1fffff, v22
	v_add_nc_u32_e32 v22, v21, v75
                                        ; implicit-def: $vgpr21
	v_cmpx_ne_u32_e64 v83, v74
	s_xor_b32 s12, exec_lo, s12
; %bb.409:                              ;   in Loop: Header=BB4_110 Depth=3
	v_cmp_lt_u32_e32 vcc_lo, 0xffffff, v22
	v_sub_nc_u32_e32 v21, v83, v74
	v_cndmask_b32_e64 v83, 0, 1, vcc_lo
	v_add_co_ci_u32_e64 v21, null, 0, v21, vcc_lo
	v_lshrrev_b32_e32 v22, v83, v22
; %bb.410:                              ;   in Loop: Header=BB4_110 Depth=3
	s_andn2_saveexec_b32 s12, s12
	s_cbranch_execz .LBB4_107
; %bb.411:                              ;   in Loop: Header=BB4_110 Depth=3
	v_bfe_u32 v21, v22, 23, 1
	s_branch .LBB4_107
.LBB4_412:                              ;   in Loop: Header=BB4_110 Depth=3
	s_or_saveexec_b32 s26, s26
	v_mov_b32_e32 v17, 0x7f800001
	s_xor_b32 exec_lo, exec_lo, s26
	s_cbranch_execz .LBB4_131
.LBB4_413:                              ;   in Loop: Header=BB4_110 Depth=3
	v_cmp_ne_u16_sdwa s27, v19, v53 src0_sel:BYTE_0 src1_sel:DWORD
	v_mov_b32_e32 v17, 0
	s_andn2_b32 s25, s25, exec_lo
	s_and_b32 s27, s27, exec_lo
	s_or_b32 s25, s25, s27
	s_or_b32 exec_lo, exec_lo, s26
	s_and_saveexec_b32 s26, s25
	s_cbranch_execnz .LBB4_132
	s_branch .LBB4_133
.LBB4_414:                              ;   in Loop: Header=BB4_110 Depth=3
	s_or_saveexec_b32 s26, s26
	v_mov_b32_e32 v20, 0x7f800001
	s_xor_b32 exec_lo, exec_lo, s26
	s_cbranch_execz .LBB4_137
.LBB4_415:                              ;   in Loop: Header=BB4_110 Depth=3
	v_cmp_ne_u16_sdwa s27, v83, v53 src0_sel:BYTE_0 src1_sel:DWORD
	v_mov_b32_e32 v20, 0
	s_andn2_b32 s25, s25, exec_lo
	s_and_b32 s27, s27, exec_lo
	s_or_b32 s25, s25, s27
	s_or_b32 exec_lo, exec_lo, s26
	s_and_saveexec_b32 s26, s25
	s_cbranch_execnz .LBB4_138
	s_branch .LBB4_139
.LBB4_416:                              ;   in Loop: Header=BB4_110 Depth=3
	s_or_saveexec_b32 s26, s26
	v_mov_b32_e32 v17, 0x7f800001
	s_xor_b32 exec_lo, exec_lo, s26
	s_cbranch_execz .LBB4_145
.LBB4_417:                              ;   in Loop: Header=BB4_110 Depth=3
	v_cmp_ne_u16_sdwa s27, v19, v53 src0_sel:BYTE_0 src1_sel:DWORD
	v_mov_b32_e32 v17, 0
	s_andn2_b32 s25, s25, exec_lo
	s_and_b32 s27, s27, exec_lo
	s_or_b32 s25, s25, s27
	s_or_b32 exec_lo, exec_lo, s26
	s_and_saveexec_b32 s26, s25
	s_cbranch_execnz .LBB4_146
	s_branch .LBB4_147
.LBB4_418:                              ;   in Loop: Header=BB4_110 Depth=3
	s_or_saveexec_b32 s26, s26
	v_mov_b32_e32 v20, 0x7f800001
	s_xor_b32 exec_lo, exec_lo, s26
	s_cbranch_execz .LBB4_151
.LBB4_419:                              ;   in Loop: Header=BB4_110 Depth=3
	v_cmp_ne_u16_sdwa s27, v83, v53 src0_sel:BYTE_0 src1_sel:DWORD
	v_mov_b32_e32 v20, 0
	s_andn2_b32 s25, s25, exec_lo
	s_and_b32 s27, s27, exec_lo
	s_or_b32 s25, s25, s27
	s_or_b32 exec_lo, exec_lo, s26
	s_and_saveexec_b32 s26, s25
	s_cbranch_execnz .LBB4_152
	s_branch .LBB4_153
.LBB4_420:                              ;   in Loop: Header=BB4_110 Depth=3
	s_or_saveexec_b32 s26, s26
	v_mov_b32_e32 v20, 0x7f800001
	s_xor_b32 exec_lo, exec_lo, s26
	s_cbranch_execz .LBB4_167
.LBB4_421:                              ;   in Loop: Header=BB4_110 Depth=3
	v_cmp_ne_u16_sdwa s27, v19, v53 src0_sel:BYTE_1 src1_sel:DWORD
	v_mov_b32_e32 v20, 0
	s_andn2_b32 s25, s25, exec_lo
	s_and_b32 s27, s27, exec_lo
	s_or_b32 s25, s25, s27
	s_or_b32 exec_lo, exec_lo, s26
	s_and_saveexec_b32 s26, s25
	s_cbranch_execnz .LBB4_168
	s_branch .LBB4_169
.LBB4_422:                              ;   in Loop: Header=BB4_110 Depth=3
	s_or_saveexec_b32 s26, s26
	v_mov_b32_e32 v52, 0x7f800001
	s_xor_b32 exec_lo, exec_lo, s26
	s_cbranch_execz .LBB4_173
.LBB4_423:                              ;   in Loop: Header=BB4_110 Depth=3
	v_cmp_ne_u16_sdwa s27, v83, v53 src0_sel:BYTE_1 src1_sel:DWORD
	v_mov_b32_e32 v52, 0
	s_andn2_b32 s25, s25, exec_lo
	s_and_b32 s27, s27, exec_lo
	s_or_b32 s25, s25, s27
	s_or_b32 exec_lo, exec_lo, s26
	s_and_saveexec_b32 s26, s25
	s_cbranch_execnz .LBB4_174
	s_branch .LBB4_175
.LBB4_424:                              ;   in Loop: Header=BB4_110 Depth=3
	s_or_saveexec_b32 s26, s26
	v_mov_b32_e32 v20, 0x7f800001
	s_xor_b32 exec_lo, exec_lo, s26
	s_cbranch_execz .LBB4_181
.LBB4_425:                              ;   in Loop: Header=BB4_110 Depth=3
	v_cmp_ne_u16_sdwa s27, v19, v53 src0_sel:BYTE_1 src1_sel:DWORD
	v_mov_b32_e32 v20, 0
	s_andn2_b32 s25, s25, exec_lo
	s_and_b32 s27, s27, exec_lo
	s_or_b32 s25, s25, s27
	s_or_b32 exec_lo, exec_lo, s26
	s_and_saveexec_b32 s26, s25
	s_cbranch_execnz .LBB4_182
	s_branch .LBB4_183
.LBB4_426:                              ;   in Loop: Header=BB4_110 Depth=3
	s_or_saveexec_b32 s26, s26
	v_mov_b32_e32 v52, 0x7f800001
	s_xor_b32 exec_lo, exec_lo, s26
	s_cbranch_execz .LBB4_187
.LBB4_427:                              ;   in Loop: Header=BB4_110 Depth=3
	v_cmp_ne_u16_sdwa s27, v83, v53 src0_sel:BYTE_1 src1_sel:DWORD
	v_mov_b32_e32 v52, 0
	s_andn2_b32 s25, s25, exec_lo
	s_and_b32 s27, s27, exec_lo
	s_or_b32 s25, s25, s27
	s_or_b32 exec_lo, exec_lo, s26
	s_and_saveexec_b32 s26, s25
	s_cbranch_execnz .LBB4_188
	s_branch .LBB4_189
.LBB4_428:                              ;   in Loop: Header=BB4_110 Depth=3
	s_or_saveexec_b32 s26, s26
	v_mov_b32_e32 v52, 0x7f800001
	s_xor_b32 exec_lo, exec_lo, s26
	s_cbranch_execz .LBB4_203
.LBB4_429:                              ;   in Loop: Header=BB4_110 Depth=3
	v_cmp_ne_u16_e32 vcc_lo, 0, v96
	v_mov_b32_e32 v52, 0
	s_andn2_b32 s25, s25, exec_lo
	s_and_b32 s27, vcc_lo, exec_lo
	s_or_b32 s25, s25, s27
	s_or_b32 exec_lo, exec_lo, s26
	s_and_saveexec_b32 s26, s25
	s_cbranch_execnz .LBB4_204
	s_branch .LBB4_205
.LBB4_430:                              ;   in Loop: Header=BB4_110 Depth=3
	s_or_saveexec_b32 s26, s26
	v_mov_b32_e32 v96, 0x7f800001
	s_xor_b32 exec_lo, exec_lo, s26
	s_cbranch_execz .LBB4_209
.LBB4_431:                              ;   in Loop: Header=BB4_110 Depth=3
	v_cmp_ne_u16_e32 vcc_lo, 0, v97
	v_mov_b32_e32 v96, 0
	s_andn2_b32 s25, s25, exec_lo
	s_and_b32 s27, vcc_lo, exec_lo
	s_or_b32 s25, s25, s27
	s_or_b32 exec_lo, exec_lo, s26
	s_and_saveexec_b32 s26, s25
	s_cbranch_execnz .LBB4_210
	s_branch .LBB4_211
.LBB4_432:                              ;   in Loop: Header=BB4_110 Depth=3
	s_or_saveexec_b32 s26, s26
	v_mov_b32_e32 v52, 0x7f800001
	s_xor_b32 exec_lo, exec_lo, s26
	s_cbranch_execz .LBB4_217
.LBB4_433:                              ;   in Loop: Header=BB4_110 Depth=3
	v_cmp_ne_u16_e32 vcc_lo, 0, v96
	v_mov_b32_e32 v52, 0
	s_andn2_b32 s25, s25, exec_lo
	s_and_b32 s27, vcc_lo, exec_lo
	s_or_b32 s25, s25, s27
	s_or_b32 exec_lo, exec_lo, s26
	s_and_saveexec_b32 s26, s25
	s_cbranch_execnz .LBB4_218
	s_branch .LBB4_219
.LBB4_434:                              ;   in Loop: Header=BB4_110 Depth=3
	s_or_saveexec_b32 s26, s26
	v_mov_b32_e32 v96, 0x7f800001
	s_xor_b32 exec_lo, exec_lo, s26
	s_cbranch_execz .LBB4_223
.LBB4_435:                              ;   in Loop: Header=BB4_110 Depth=3
	v_cmp_ne_u16_e32 vcc_lo, 0, v97
	v_mov_b32_e32 v96, 0
	s_andn2_b32 s25, s25, exec_lo
	s_and_b32 s27, vcc_lo, exec_lo
	s_or_b32 s25, s25, s27
	s_or_b32 exec_lo, exec_lo, s26
	s_and_saveexec_b32 s26, s25
	s_cbranch_execnz .LBB4_224
	s_branch .LBB4_225
.LBB4_436:                              ;   in Loop: Header=BB4_110 Depth=3
	s_or_saveexec_b32 s26, s26
	v_mov_b32_e32 v96, 0x7f800001
	s_xor_b32 exec_lo, exec_lo, s26
	s_cbranch_execz .LBB4_239
.LBB4_437:                              ;   in Loop: Header=BB4_110 Depth=3
	v_cmp_ne_u16_sdwa s27, v19, v53 src0_sel:BYTE_3 src1_sel:DWORD
	v_mov_b32_e32 v96, 0
	s_andn2_b32 s25, s25, exec_lo
	s_and_b32 s27, s27, exec_lo
	s_or_b32 s25, s25, s27
	s_or_b32 exec_lo, exec_lo, s26
	s_and_saveexec_b32 s26, s25
	s_cbranch_execnz .LBB4_240
	s_branch .LBB4_241
.LBB4_438:                              ;   in Loop: Header=BB4_110 Depth=3
	s_or_saveexec_b32 s26, s26
	v_mov_b32_e32 v19, 0x7f800001
	s_xor_b32 exec_lo, exec_lo, s26
	s_cbranch_execz .LBB4_245
.LBB4_439:                              ;   in Loop: Header=BB4_110 Depth=3
	v_cmp_ne_u16_sdwa s27, v83, v53 src0_sel:BYTE_3 src1_sel:DWORD
	v_mov_b32_e32 v19, 0
	s_andn2_b32 s25, s25, exec_lo
	s_and_b32 s27, s27, exec_lo
	s_or_b32 s25, s25, s27
	s_or_b32 exec_lo, exec_lo, s26
	s_and_saveexec_b32 s26, s25
	s_cbranch_execnz .LBB4_246
	s_branch .LBB4_247
.LBB4_440:                              ;   in Loop: Header=BB4_110 Depth=3
	s_or_saveexec_b32 s26, s26
	v_mov_b32_e32 v96, 0x7f800001
	s_xor_b32 exec_lo, exec_lo, s26
	s_cbranch_execz .LBB4_253
.LBB4_441:                              ;   in Loop: Header=BB4_110 Depth=3
	v_cmp_ne_u16_sdwa s27, v19, v53 src0_sel:BYTE_3 src1_sel:DWORD
	v_mov_b32_e32 v96, 0
	s_andn2_b32 s25, s25, exec_lo
	s_and_b32 s27, s27, exec_lo
	s_or_b32 s25, s25, s27
	s_or_b32 exec_lo, exec_lo, s26
	s_and_saveexec_b32 s26, s25
	s_cbranch_execnz .LBB4_254
	s_branch .LBB4_255
.LBB4_442:                              ;   in Loop: Header=BB4_110 Depth=3
	s_or_saveexec_b32 s26, s26
	v_mov_b32_e32 v19, 0x7f800001
	s_xor_b32 exec_lo, exec_lo, s26
	s_cbranch_execz .LBB4_259
.LBB4_443:                              ;   in Loop: Header=BB4_110 Depth=3
	v_cmp_ne_u16_sdwa s27, v83, v53 src0_sel:BYTE_3 src1_sel:DWORD
	v_mov_b32_e32 v19, 0
	s_andn2_b32 s25, s25, exec_lo
	s_and_b32 s27, s27, exec_lo
	s_or_b32 s25, s25, s27
	s_or_b32 exec_lo, exec_lo, s26
	s_and_saveexec_b32 s26, s25
	s_cbranch_execnz .LBB4_260
	s_branch .LBB4_261
.LBB4_444:                              ;   in Loop: Header=BB4_110 Depth=3
	s_or_saveexec_b32 s26, s26
	v_mov_b32_e32 v22, 0x7f800001
	s_xor_b32 exec_lo, exec_lo, s26
	s_cbranch_execz .LBB4_275
.LBB4_445:                              ;   in Loop: Header=BB4_110 Depth=3
	v_cmp_ne_u16_sdwa s27, v21, v53 src0_sel:BYTE_0 src1_sel:DWORD
	v_mov_b32_e32 v22, 0
	s_andn2_b32 s25, s25, exec_lo
	s_and_b32 s27, s27, exec_lo
	s_or_b32 s25, s25, s27
	s_or_b32 exec_lo, exec_lo, s26
	s_and_saveexec_b32 s26, s25
	s_cbranch_execnz .LBB4_276
	s_branch .LBB4_277
.LBB4_446:                              ;   in Loop: Header=BB4_110 Depth=3
	s_or_saveexec_b32 s26, s26
	v_mov_b32_e32 v96, 0x7f800001
	s_xor_b32 exec_lo, exec_lo, s26
	s_cbranch_execz .LBB4_281
.LBB4_447:                              ;   in Loop: Header=BB4_110 Depth=3
	v_cmp_ne_u16_sdwa s27, v83, v53 src0_sel:BYTE_0 src1_sel:DWORD
	v_mov_b32_e32 v96, 0
	s_andn2_b32 s25, s25, exec_lo
	s_and_b32 s27, s27, exec_lo
	s_or_b32 s25, s25, s27
	s_or_b32 exec_lo, exec_lo, s26
	s_and_saveexec_b32 s26, s25
	s_cbranch_execnz .LBB4_282
	s_branch .LBB4_283
.LBB4_448:                              ;   in Loop: Header=BB4_110 Depth=3
	s_or_saveexec_b32 s26, s26
	v_mov_b32_e32 v22, 0x7f800001
	s_xor_b32 exec_lo, exec_lo, s26
	s_cbranch_execz .LBB4_289
.LBB4_449:                              ;   in Loop: Header=BB4_110 Depth=3
	v_cmp_ne_u16_sdwa s27, v21, v53 src0_sel:BYTE_0 src1_sel:DWORD
	v_mov_b32_e32 v22, 0
	s_andn2_b32 s25, s25, exec_lo
	s_and_b32 s27, s27, exec_lo
	s_or_b32 s25, s25, s27
	s_or_b32 exec_lo, exec_lo, s26
	s_and_saveexec_b32 s26, s25
	s_cbranch_execnz .LBB4_290
	s_branch .LBB4_291
.LBB4_450:                              ;   in Loop: Header=BB4_110 Depth=3
	s_or_saveexec_b32 s26, s26
	v_mov_b32_e32 v96, 0x7f800001
	s_xor_b32 exec_lo, exec_lo, s26
	s_cbranch_execz .LBB4_295
.LBB4_451:                              ;   in Loop: Header=BB4_110 Depth=3
	v_cmp_ne_u16_sdwa s27, v83, v53 src0_sel:BYTE_0 src1_sel:DWORD
	v_mov_b32_e32 v96, 0
	s_andn2_b32 s25, s25, exec_lo
	s_and_b32 s27, s27, exec_lo
	s_or_b32 s25, s25, s27
	s_or_b32 exec_lo, exec_lo, s26
	s_and_saveexec_b32 s26, s25
	s_cbranch_execnz .LBB4_296
	s_branch .LBB4_297
.LBB4_452:                              ;   in Loop: Header=BB4_110 Depth=3
	s_or_saveexec_b32 s26, s26
	v_mov_b32_e32 v22, 0x7f800001
	s_xor_b32 exec_lo, exec_lo, s26
	s_cbranch_execz .LBB4_311
.LBB4_453:                              ;   in Loop: Header=BB4_110 Depth=3
	v_cmp_ne_u16_sdwa s27, v21, v53 src0_sel:BYTE_1 src1_sel:DWORD
	v_mov_b32_e32 v22, 0
	s_andn2_b32 s25, s25, exec_lo
	s_and_b32 s27, s27, exec_lo
	s_or_b32 s25, s25, s27
	s_or_b32 exec_lo, exec_lo, s26
	s_and_saveexec_b32 s26, s25
	s_cbranch_execnz .LBB4_312
	s_branch .LBB4_313
.LBB4_454:                              ;   in Loop: Header=BB4_110 Depth=3
	s_or_saveexec_b32 s26, s26
	v_mov_b32_e32 v97, 0x7f800001
	s_xor_b32 exec_lo, exec_lo, s26
	s_cbranch_execz .LBB4_317
.LBB4_455:                              ;   in Loop: Header=BB4_110 Depth=3
	v_cmp_ne_u16_sdwa s27, v83, v53 src0_sel:BYTE_1 src1_sel:DWORD
	v_mov_b32_e32 v97, 0
	s_andn2_b32 s25, s25, exec_lo
	s_and_b32 s27, s27, exec_lo
	s_or_b32 s25, s25, s27
	s_or_b32 exec_lo, exec_lo, s26
	s_and_saveexec_b32 s26, s25
	s_cbranch_execnz .LBB4_318
	s_branch .LBB4_319
.LBB4_456:                              ;   in Loop: Header=BB4_110 Depth=3
	s_or_saveexec_b32 s26, s26
	v_mov_b32_e32 v22, 0x7f800001
	s_xor_b32 exec_lo, exec_lo, s26
	s_cbranch_execz .LBB4_325
.LBB4_457:                              ;   in Loop: Header=BB4_110 Depth=3
	v_cmp_ne_u16_sdwa s27, v21, v53 src0_sel:BYTE_1 src1_sel:DWORD
	v_mov_b32_e32 v22, 0
	s_andn2_b32 s25, s25, exec_lo
	s_and_b32 s27, s27, exec_lo
	s_or_b32 s25, s25, s27
	s_or_b32 exec_lo, exec_lo, s26
	s_and_saveexec_b32 s26, s25
	s_cbranch_execnz .LBB4_326
	s_branch .LBB4_327
.LBB4_458:                              ;   in Loop: Header=BB4_110 Depth=3
	s_or_saveexec_b32 s26, s26
	v_mov_b32_e32 v97, 0x7f800001
	s_xor_b32 exec_lo, exec_lo, s26
	s_cbranch_execz .LBB4_331
.LBB4_459:                              ;   in Loop: Header=BB4_110 Depth=3
	v_cmp_ne_u16_sdwa s27, v83, v53 src0_sel:BYTE_1 src1_sel:DWORD
	v_mov_b32_e32 v97, 0
	s_andn2_b32 s25, s25, exec_lo
	s_and_b32 s27, s27, exec_lo
	s_or_b32 s25, s25, s27
	s_or_b32 exec_lo, exec_lo, s26
	s_and_saveexec_b32 s26, s25
	s_cbranch_execnz .LBB4_332
	s_branch .LBB4_333
.LBB4_460:                              ;   in Loop: Header=BB4_110 Depth=3
	s_or_saveexec_b32 s26, s26
	v_mov_b32_e32 v22, 0x7f800001
	s_xor_b32 exec_lo, exec_lo, s26
	s_cbranch_execz .LBB4_347
.LBB4_461:                              ;   in Loop: Header=BB4_110 Depth=3
	v_cmp_ne_u16_e32 vcc_lo, 0, v72
	v_mov_b32_e32 v22, 0
	s_andn2_b32 s25, s25, exec_lo
	s_and_b32 s27, vcc_lo, exec_lo
	s_or_b32 s25, s25, s27
	s_or_b32 exec_lo, exec_lo, s26
	s_and_saveexec_b32 s26, s25
	s_cbranch_execnz .LBB4_348
	s_branch .LBB4_349
.LBB4_462:                              ;   in Loop: Header=BB4_110 Depth=3
	s_or_saveexec_b32 s26, s26
	v_mov_b32_e32 v72, 0x7f800001
	s_xor_b32 exec_lo, exec_lo, s26
	s_cbranch_execz .LBB4_353
.LBB4_463:                              ;   in Loop: Header=BB4_110 Depth=3
	v_cmp_ne_u16_e32 vcc_lo, 0, v73
	v_mov_b32_e32 v72, 0
	s_andn2_b32 s25, s25, exec_lo
	s_and_b32 s27, vcc_lo, exec_lo
	s_or_b32 s25, s25, s27
	s_or_b32 exec_lo, exec_lo, s26
	s_and_saveexec_b32 s26, s25
	s_cbranch_execnz .LBB4_354
	s_branch .LBB4_355
.LBB4_464:                              ;   in Loop: Header=BB4_110 Depth=3
	s_or_saveexec_b32 s26, s26
	v_mov_b32_e32 v22, 0x7f800001
	s_xor_b32 exec_lo, exec_lo, s26
	s_cbranch_execz .LBB4_361
.LBB4_465:                              ;   in Loop: Header=BB4_110 Depth=3
	v_cmp_ne_u16_e32 vcc_lo, 0, v72
	v_mov_b32_e32 v22, 0
	s_andn2_b32 s25, s25, exec_lo
	s_and_b32 s27, vcc_lo, exec_lo
	s_or_b32 s25, s25, s27
	s_or_b32 exec_lo, exec_lo, s26
	s_and_saveexec_b32 s26, s25
	s_cbranch_execnz .LBB4_362
	s_branch .LBB4_363
.LBB4_466:                              ;   in Loop: Header=BB4_110 Depth=3
	s_or_saveexec_b32 s26, s26
	v_mov_b32_e32 v72, 0x7f800001
	s_xor_b32 exec_lo, exec_lo, s26
	s_cbranch_execz .LBB4_367
.LBB4_467:                              ;   in Loop: Header=BB4_110 Depth=3
	v_cmp_ne_u16_e32 vcc_lo, 0, v73
	v_mov_b32_e32 v72, 0
	s_andn2_b32 s25, s25, exec_lo
	s_and_b32 s27, vcc_lo, exec_lo
	s_or_b32 s25, s25, s27
	s_or_b32 exec_lo, exec_lo, s26
	s_and_saveexec_b32 s26, s25
	s_cbranch_execnz .LBB4_368
	s_branch .LBB4_369
.LBB4_468:                              ;   in Loop: Header=BB4_110 Depth=3
	s_or_saveexec_b32 s26, s26
	v_mov_b32_e32 v22, 0x7f800001
	s_xor_b32 exec_lo, exec_lo, s26
	s_cbranch_execz .LBB4_383
.LBB4_469:                              ;   in Loop: Header=BB4_110 Depth=3
	v_cmp_ne_u16_sdwa s27, v21, v53 src0_sel:BYTE_3 src1_sel:DWORD
	v_mov_b32_e32 v22, 0
	s_andn2_b32 s25, s25, exec_lo
	s_and_b32 s27, s27, exec_lo
	s_or_b32 s25, s25, s27
	s_or_b32 exec_lo, exec_lo, s26
	s_and_saveexec_b32 s26, s25
	s_cbranch_execnz .LBB4_384
	s_branch .LBB4_385
.LBB4_470:                              ;   in Loop: Header=BB4_110 Depth=3
	s_or_saveexec_b32 s26, s26
	v_mov_b32_e32 v21, 0x7f800001
	s_xor_b32 exec_lo, exec_lo, s26
	s_cbranch_execz .LBB4_389
.LBB4_471:                              ;   in Loop: Header=BB4_110 Depth=3
	v_cmp_ne_u16_sdwa s27, v83, v53 src0_sel:BYTE_3 src1_sel:DWORD
	v_mov_b32_e32 v21, 0
	s_andn2_b32 s25, s25, exec_lo
	s_and_b32 s27, s27, exec_lo
	s_or_b32 s25, s25, s27
	s_or_b32 exec_lo, exec_lo, s26
	s_and_saveexec_b32 s26, s25
	s_cbranch_execnz .LBB4_390
	s_branch .LBB4_391
.LBB4_472:                              ;   in Loop: Header=BB4_110 Depth=3
	s_or_saveexec_b32 s26, s26
	v_mov_b32_e32 v22, 0x7f800001
	s_xor_b32 exec_lo, exec_lo, s26
	s_cbranch_execz .LBB4_397
.LBB4_473:                              ;   in Loop: Header=BB4_110 Depth=3
	v_cmp_ne_u16_sdwa s27, v21, v53 src0_sel:BYTE_3 src1_sel:DWORD
	v_mov_b32_e32 v22, 0
	s_andn2_b32 s25, s25, exec_lo
	s_and_b32 s27, s27, exec_lo
	s_or_b32 s25, s25, s27
	s_or_b32 exec_lo, exec_lo, s26
	s_and_saveexec_b32 s26, s25
	s_cbranch_execnz .LBB4_398
	s_branch .LBB4_399
.LBB4_474:                              ;   in Loop: Header=BB4_110 Depth=3
	s_or_saveexec_b32 s26, s26
	v_mov_b32_e32 v21, 0x7f800001
	s_xor_b32 exec_lo, exec_lo, s26
	s_cbranch_execz .LBB4_403
.LBB4_475:                              ;   in Loop: Header=BB4_110 Depth=3
	v_cmp_ne_u16_sdwa s27, v83, v53 src0_sel:BYTE_3 src1_sel:DWORD
	v_mov_b32_e32 v21, 0
	s_andn2_b32 s25, s25, exec_lo
	s_and_b32 s27, s27, exec_lo
	s_or_b32 s25, s25, s27
	s_or_b32 exec_lo, exec_lo, s26
	s_and_saveexec_b32 s26, s25
	s_cbranch_execnz .LBB4_404
	s_branch .LBB4_405
.LBB4_476:                              ;   in Loop: Header=BB4_70 Depth=2
	s_or_b32 exec_lo, exec_lo, s23
	s_and_saveexec_b32 s12, s7
	s_cbranch_execz .LBB4_489
.LBB4_477:                              ;   in Loop: Header=BB4_70 Depth=2
	s_and_saveexec_b32 s23, s19
	s_xor_b32 s23, exec_lo, s23
	s_cbranch_execz .LBB4_498
; %bb.478:                              ;   in Loop: Header=BB4_70 Depth=2
	s_and_saveexec_b32 s24, s8
	s_cbranch_execz .LBB4_497
; %bb.479:                              ;   in Loop: Header=BB4_70 Depth=2
	s_mov_b32 s26, exec_lo
	s_mov_b32 s25, exec_lo
	v_mbcnt_lo_u32_b32 v17, s26, 0
	s_waitcnt vmcnt(0) lgkmcnt(0)
	s_waitcnt_vscnt null, 0x0
	buffer_gl1_inv
	buffer_gl0_inv
	v_cmpx_eq_u32_e32 0, v17
	s_cbranch_execz .LBB4_481
; %bb.480:                              ;   in Loop: Header=BB4_70 Depth=2
	s_bcnt1_i32_b32 s26, s26
	v_mov_b32_e32 v52, s26
	ds_add_u64 v0, v[52:53]
	s_trap 2
.LBB4_481:                              ;   in Loop: Header=BB4_70 Depth=2
	s_or_b32 exec_lo, exec_lo, s25
	s_trap 2
	ds_read_b64 v[19:20], v0
	s_waitcnt lgkmcnt(0)
	buffer_gl0_inv
	v_add_co_u32 v2, vcc_lo, v2, v100
	v_add_co_ci_u32_e64 v3, null, 0, v3, vcc_lo
	s_mov_b32 s25, exec_lo
	v_cmpx_lt_u64_e64 v[19:20], v[2:3]
	s_cbranch_execz .LBB4_496
; %bb.482:                              ;   in Loop: Header=BB4_70 Depth=2
	s_mov_b32 s26, 0
	s_mov_b32 s29, 0
                                        ; implicit-def: $sgpr27
                                        ; implicit-def: $sgpr28
	s_inst_prefetch 0x1
	s_branch .LBB4_484
	.p2align	6
.LBB4_483:                              ;   in Loop: Header=BB4_484 Depth=3
	s_or_b32 exec_lo, exec_lo, s41
	s_and_b32 s40, exec_lo, s42
	s_or_b32 s26, s40, s26
	s_andn2_b32 s27, s27, exec_lo
	s_and_b32 s40, s28, exec_lo
	s_or_b32 s27, s27, s40
	s_andn2_b32 exec_lo, exec_lo, s26
	s_cbranch_execz .LBB4_494
.LBB4_484:                              ;   Parent Loop BB4_21 Depth=1
                                        ;     Parent Loop BB4_70 Depth=2
                                        ; =>    This Inner Loop Header: Depth=3
	s_add_i32 s29, s29, 1
	s_cmpk_lg_i32 s29, 0x2710
	s_cselect_b32 s40, -1, 0
	s_and_b32 vcc_lo, exec_lo, s40
	s_cbranch_vccz .LBB4_486
; %bb.485:                              ;   in Loop: Header=BB4_484 Depth=3
	s_mov_b32 s42, -1
	s_or_b32 s28, s28, exec_lo
	s_and_saveexec_b32 s41, s40
	s_cbranch_execz .LBB4_483
	s_branch .LBB4_487
	.p2align	6
.LBB4_486:                              ;   in Loop: Header=BB4_484 Depth=3
	s_trap 2
	ds_read_b64 v[19:20], v0
	s_andn2_b32 s40, s40, exec_lo
	s_mov_b32 s29, 0
	s_waitcnt lgkmcnt(0)
	flat_load_dword v17, v[19:20] glc dlc
	s_waitcnt vmcnt(0) lgkmcnt(0)
	buffer_gl1_inv
	buffer_gl0_inv
	v_cmp_eq_u32_e32 vcc_lo, 0, v17
	s_and_b32 s41, vcc_lo, exec_lo
	s_or_b32 s40, s40, s41
	s_mov_b32 s42, -1
	s_or_b32 s28, s28, exec_lo
	s_and_saveexec_b32 s41, s40
	s_cbranch_execz .LBB4_483
.LBB4_487:                              ;   in Loop: Header=BB4_484 Depth=3
	s_sleep 1
	s_trap 2
	ds_read_b64 v[19:20], v0
	s_waitcnt lgkmcnt(0)
	buffer_gl0_inv
	s_andn2_b32 s28, s28, exec_lo
	v_cmp_ge_u64_e32 vcc_lo, v[19:20], v[2:3]
	s_orn2_b32 s42, vcc_lo, exec_lo
	s_branch .LBB4_483
.LBB4_488:                              ;   in Loop: Header=BB4_70 Depth=2
	s_or_b32 exec_lo, exec_lo, s24
	s_or_b32 exec_lo, exec_lo, s23
	s_and_saveexec_b32 s12, s7
	s_cbranch_execnz .LBB4_477
.LBB4_489:                              ;   in Loop: Header=BB4_70 Depth=2
	s_or_b32 exec_lo, exec_lo, s12
	s_and_saveexec_b32 s12, s10
	s_cbranch_execz .LBB4_491
.LBB4_490:                              ;   in Loop: Header=BB4_70 Depth=2
	v_add_co_u32 v38, vcc_lo, v38, 1
	v_add_co_ci_u32_e64 v39, null, 0, v39, vcc_lo
	s_waitcnt vmcnt(0) lgkmcnt(0)
	s_waitcnt_vscnt null, 0x0
	flat_store_dwordx2 v[48:49], v[38:39]
.LBB4_491:                              ;   in Loop: Header=BB4_70 Depth=2
	s_or_b32 exec_lo, exec_lo, s12
	v_and_b32_e32 v52, 0x7ffffff8, v70
	v_cmp_gt_i32_e64 s12, s18, v82
	v_cmp_eq_u64_e32 vcc_lo, 0x7ffffff8, v[52:53]
	s_and_b32 s12, vcc_lo, s12
	s_and_saveexec_b32 s23, s12
	s_cbranch_execz .LBB4_69
; %bb.492:                              ;   in Loop: Header=BB4_70 Depth=2
	v_and_b32_e32 v17, 7, v57
	v_ashrrev_i32_e32 v83, 31, v82
	s_mov_b32 s24, 0
	s_waitcnt vmcnt(0) lgkmcnt(0)
	v_mul_lo_u32 v19, s18, v17
	v_lshlrev_b64 v[21:22], 4, v[82:83]
	v_mov_b32_e32 v17, v53
	v_ashrrev_i32_e32 v20, 31, v19
	v_lshlrev_b64 v[19:20], 4, v[19:20]
	v_add_co_u32 v19, vcc_lo, v21, v19
	v_add_co_ci_u32_e64 v20, null, v22, v20, vcc_lo
	v_add_co_u32 v21, vcc_lo, v36, v19
	v_add_co_ci_u32_e64 v22, null, v37, v20, vcc_lo
.LBB4_493:                              ;   Parent Loop BB4_21 Depth=1
                                        ;     Parent Loop BB4_70 Depth=2
                                        ; =>    This Inner Loop Header: Depth=3
	v_mov_b32_e32 v19, v17
	v_add_nc_u32_e32 v82, v82, v1
	v_mov_b32_e32 v20, v18
	v_cmp_le_i32_e32 vcc_lo, s18, v82
	global_store_dwordx4 v[21:22], v[17:20], off
	v_add_co_u32 v21, s12, v21, v9
	v_add_co_ci_u32_e64 v22, null, v22, v10, s12
	s_or_b32 s24, vcc_lo, s24
	s_andn2_b32 exec_lo, exec_lo, s24
	s_cbranch_execnz .LBB4_493
	s_branch .LBB4_69
.LBB4_494:                              ;   in Loop: Header=BB4_70 Depth=2
	s_inst_prefetch 0x2
	s_or_b32 exec_lo, exec_lo, s26
	s_and_saveexec_b32 s26, s27
	s_xor_b32 s26, exec_lo, s26
	s_cbranch_execz .LBB4_496
; %bb.495:                              ;   in Loop: Header=BB4_70 Depth=2
	ds_write_b32 v0, v118
	s_trap 2
.LBB4_496:                              ;   in Loop: Header=BB4_70 Depth=2
	s_or_b32 exec_lo, exec_lo, s25
	;;#ASMSTART
	s_wakeup
	;;#ASMEND
.LBB4_497:                              ;   in Loop: Header=BB4_70 Depth=2
	s_or_b32 exec_lo, exec_lo, s24
.LBB4_498:                              ;   in Loop: Header=BB4_70 Depth=2
	s_andn2_saveexec_b32 s23, s23
	s_cbranch_execz .LBB4_500
; %bb.499:                              ;   in Loop: Header=BB4_70 Depth=2
	s_waitcnt vmcnt(0) lgkmcnt(0)
	s_waitcnt_vscnt null, 0x0
	buffer_gl1_inv
	buffer_gl0_inv
	s_barrier
.LBB4_500:                              ;   in Loop: Header=BB4_70 Depth=2
	s_or_b32 exec_lo, exec_lo, s23
	s_or_b32 exec_lo, exec_lo, s12
	s_and_saveexec_b32 s12, s10
	s_cbranch_execnz .LBB4_490
	s_branch .LBB4_491
.LBB4_501:                              ;   in Loop: Header=BB4_21 Depth=1
	v_mov_b32_e32 v21, v70
	v_mov_b32_e32 v22, v71
	s_and_saveexec_b32 s12, s11
	s_cbranch_execz .LBB4_890
; %bb.502:                              ;   in Loop: Header=BB4_21 Depth=1
	flat_load_dword v52, v[23:24]
	v_and_b32_e32 v17, 7, v34
	s_waitcnt vmcnt(1) lgkmcnt(1)
	v_add_co_u32 v19, vcc_lo, v11, v47
	v_add_co_ci_u32_e64 v20, null, v12, v56, vcc_lo
	v_mul_lo_u32 v17, v17, s18
	v_add_nc_u32_e32 v83, 1, v34
	s_mov_b32 s22, 0
	v_ashrrev_i32_e32 v18, 31, v17
	v_lshlrev_b64 v[17:18], 4, v[17:18]
	s_waitcnt vmcnt(0) lgkmcnt(0)
	v_ashrrev_i32_e32 v70, 31, v52
	v_mul_lo_u32 v80, v99, v52
	v_mad_u64_u32 v[19:20], null, v98, v52, v[19:20]
	v_mul_lo_u32 v52, v98, v70
	v_add_co_u32 v70, vcc_lo, v113, v47
	v_add_co_ci_u32_e64 v71, null, v114, v56, vcc_lo
	v_add_co_u32 v84, vcc_lo, v32, v17
	v_add_co_ci_u32_e64 v85, null, v33, v18, vcc_lo
	v_add3_u32 v20, v80, v20, v52
	v_add_co_u32 v86, vcc_lo, v19, v101
	v_mov_b32_e32 v80, v4
	v_add_co_ci_u32_e64 v87, null, 0, v20, vcc_lo
	s_branch .LBB4_504
.LBB4_503:                              ;   in Loop: Header=BB4_504 Depth=2
	v_sub_nc_u32_e32 v45, v45, v102
	v_add_co_u32 v86, vcc_lo, v86, v102
	v_add_co_ci_u32_e64 v87, null, 0, v87, vcc_lo
	v_cmp_gt_i32_e32 vcc_lo, 1, v45
	v_add_co_u32 v70, s11, v70, v102
	v_add_co_ci_u32_e64 v71, null, 0, v71, s11
	v_add_nc_u32_e32 v80, v80, v1
	s_or_b32 s22, vcc_lo, s22
	s_andn2_b32 exec_lo, exec_lo, s22
	s_cbranch_execz .LBB4_902
.LBB4_504:                              ;   Parent Loop BB4_21 Depth=1
                                        ; =>  This Loop Header: Depth=2
                                        ;       Child Loop BB4_512 Depth 3
	v_and_b32_e32 v17, -4, v86
	v_mov_b32_e32 v18, v87
	v_min_u32_e32 v19, 8, v45
	v_and_b32_e32 v20, 3, v86
	v_mov_b32_e32 v96, 0
	v_mov_b32_e32 v97, 0
	global_load_dword v46, v[17:18], off slc
	s_mov_b32 s11, exec_lo
	v_add_nc_u32_e32 v52, v20, v19
	v_cmpx_lt_u32_e32 4, v52
	s_cbranch_execz .LBB4_506
; %bb.505:                              ;   in Loop: Header=BB4_504 Depth=2
	global_load_dword v97, v[17:18], off offset:4 slc
.LBB4_506:                              ;   in Loop: Header=BB4_504 Depth=2
	s_or_b32 exec_lo, exec_lo, s11
	s_mov_b32 s11, exec_lo
	v_cmpx_lt_u64_e32 8, v[52:53]
	s_cbranch_execz .LBB4_508
; %bb.507:                              ;   in Loop: Header=BB4_504 Depth=2
	global_load_dword v96, v[17:18], off offset:8 slc
.LBB4_508:                              ;   in Loop: Header=BB4_504 Depth=2
	s_or_b32 exec_lo, exec_lo, s11
	v_mov_b32_e32 v81, v53
	v_lshlrev_b64 v[17:18], 4, v[80:81]
	v_add_co_u32 v81, vcc_lo, v84, v17
	v_add_co_ci_u32_e64 v82, null, v85, v18, vcc_lo
	v_cmp_eq_u32_e32 vcc_lo, 0, v44
	v_mov_b32_e32 v44, 1
	global_load_dwordx4 v[17:20], v[81:82], off slc
	s_and_saveexec_b32 s23, vcc_lo
	s_cbranch_execz .LBB4_520
; %bb.509:                              ;   in Loop: Header=BB4_504 Depth=2
	s_waitcnt vmcnt(0)
	v_cmp_ne_u32_e32 vcc_lo, v83, v18
	v_cmp_ne_u32_e64 s11, v83, v20
	v_mov_b32_e32 v44, 0
	s_or_b32 s11, vcc_lo, s11
	s_and_saveexec_b32 s24, s11
	s_cbranch_execz .LBB4_519
; %bb.510:                              ;   in Loop: Header=BB4_504 Depth=2
	s_mov_b32 s28, 1
	s_mov_b32 s26, 0
                                        ; implicit-def: $sgpr25
                                        ; implicit-def: $sgpr27
	s_inst_prefetch 0x1
	s_branch .LBB4_512
	.p2align	6
.LBB4_511:                              ;   in Loop: Header=BB4_512 Depth=3
	s_or_b32 exec_lo, exec_lo, s40
	s_and_b32 s11, exec_lo, s11
	s_or_b32 s26, s11, s26
	s_andn2_b32 s11, s25, exec_lo
	s_and_b32 s25, s27, exec_lo
	s_or_b32 s25, s11, s25
	s_andn2_b32 exec_lo, exec_lo, s26
	s_cbranch_execz .LBB4_516
.LBB4_512:                              ;   Parent Loop BB4_21 Depth=1
                                        ;     Parent Loop BB4_504 Depth=2
                                        ; =>    This Inner Loop Header: Depth=3
	global_load_dwordx4 v[17:20], v[81:82], off slc
	s_add_i32 s28, s28, 1
	s_mov_b32 s11, -1
	s_cmpk_lg_i32 s28, 0x2710
	s_mov_b32 s29, -1
                                        ; implicit-def: $vgpr52
	s_cbranch_scc0 .LBB4_514
; %bb.513:                              ;   in Loop: Header=BB4_512 Depth=3
	s_or_b32 s27, s27, exec_lo
	s_and_saveexec_b32 s40, s29
	s_cbranch_execz .LBB4_511
	s_branch .LBB4_515
	.p2align	6
.LBB4_514:                              ;   in Loop: Header=BB4_512 Depth=3
	s_trap 2
	ds_read_b64 v[56:57], v0
	s_mov_b32 s28, 0
	s_waitcnt vmcnt(0) lgkmcnt(0)
	s_waitcnt_vscnt null, 0x0
	flat_load_dword v52, v[56:57] glc dlc
	s_waitcnt vmcnt(0) lgkmcnt(0)
	buffer_gl1_inv
	buffer_gl0_inv
	v_cmp_eq_u32_e32 vcc_lo, 0, v52
	s_orn2_b32 s29, vcc_lo, exec_lo
	s_or_b32 s27, s27, exec_lo
	s_and_saveexec_b32 s40, s29
	s_cbranch_execz .LBB4_511
.LBB4_515:                              ;   in Loop: Header=BB4_512 Depth=3
	s_waitcnt vmcnt(0)
	v_cmp_eq_u32_e32 vcc_lo, v83, v18
	v_cmp_eq_u32_e64 s11, v83, v20
	s_andn2_b32 s27, s27, exec_lo
	s_and_b32 s11, vcc_lo, s11
	s_orn2_b32 s11, s11, exec_lo
	s_branch .LBB4_511
.LBB4_516:                              ;   in Loop: Header=BB4_504 Depth=2
	s_inst_prefetch 0x2
	s_or_b32 exec_lo, exec_lo, s26
	v_mov_b32_e32 v44, 0
	s_and_saveexec_b32 s11, s25
	s_xor_b32 s11, exec_lo, s11
	s_cbranch_execz .LBB4_518
; %bb.517:                              ;   in Loop: Header=BB4_504 Depth=2
	v_mov_b32_e32 v44, 1
	s_waitcnt vmcnt(0)
	s_waitcnt_vscnt null, 0x0
	ds_write_b32 v0, v52
	s_trap 2
.LBB4_518:                              ;   in Loop: Header=BB4_504 Depth=2
	s_or_b32 exec_lo, exec_lo, s11
.LBB4_519:                              ;   in Loop: Header=BB4_504 Depth=2
	s_or_b32 exec_lo, exec_lo, s24
.LBB4_520:                              ;   in Loop: Header=BB4_504 Depth=2
	s_or_b32 exec_lo, exec_lo, s23
	s_waitcnt vmcnt(0)
	v_lshlrev_b32_e32 v20, 3, v86
                                        ; implicit-def: $vgpr52
	v_alignbit_b32 v82, v97, v46, v20
	s_and_saveexec_b32 s11, s9
	s_xor_b32 s11, exec_lo, s11
	s_cbranch_execz .LBB4_534
; %bb.521:                              ;   in Loop: Header=BB4_504 Depth=2
	v_cmp_gt_i16_sdwa s24, v17, v119 src0_sel:BYTE_0 src1_sel:DWORD
	s_mov_b32 s23, 0
	s_and_saveexec_b32 s25, s24
	s_xor_b32 s24, exec_lo, s25
	s_cbranch_execz .LBB4_826
; %bb.522:                              ;   in Loop: Header=BB4_504 Depth=2
	v_cmp_eq_u16_sdwa s26, v17, v40 src0_sel:BYTE_0 src1_sel:DWORD
	s_mov_b32 s23, -1
	s_and_saveexec_b32 s25, s26
; %bb.523:                              ;   in Loop: Header=BB4_504 Depth=2
	s_xor_b32 s23, exec_lo, -1
; %bb.524:                              ;   in Loop: Header=BB4_504 Depth=2
	s_or_b32 exec_lo, exec_lo, s25
	s_and_b32 s23, s23, exec_lo
	s_or_saveexec_b32 s24, s24
	v_mov_b32_e32 v18, 0x7f800001
	s_xor_b32 exec_lo, exec_lo, s24
	s_cbranch_execnz .LBB4_827
.LBB4_525:                              ;   in Loop: Header=BB4_504 Depth=2
	s_or_b32 exec_lo, exec_lo, s24
	s_and_saveexec_b32 s24, s23
	s_cbranch_execz .LBB4_527
.LBB4_526:                              ;   in Loop: Header=BB4_504 Depth=2
	v_and_b32_e32 v18, 3, v17
	v_bfe_u32 v46, v17, 2, 5
	v_lshlrev_b32_e32 v47, 24, v17
	v_ffbh_u32_e32 v52, v18
	v_cmp_eq_u32_e32 vcc_lo, 0, v46
	v_min_u32_e32 v52, 32, v52
	v_subrev_nc_u32_e32 v81, 29, v52
	v_sub_nc_u32_e32 v52, 30, v52
	v_lshlrev_b32_e32 v81, v81, v17
	v_cndmask_b32_e32 v52, v46, v52, vcc_lo
	v_and_b32_e32 v81, 3, v81
	v_lshl_add_u32 v52, v52, 23, 0x37800000
	v_cndmask_b32_e32 v18, v18, v81, vcc_lo
	v_and_b32_e32 v81, 0x80000000, v47
	v_lshlrev_b32_e32 v18, 21, v18
	v_or3_b32 v18, v81, v52, v18
.LBB4_527:                              ;   in Loop: Header=BB4_504 Depth=2
	s_or_b32 exec_lo, exec_lo, s24
	v_cmp_gt_i16_sdwa s24, v82, v119 src0_sel:BYTE_0 src1_sel:DWORD
	s_mov_b32 s23, 0
	s_and_saveexec_b32 s25, s24
	s_xor_b32 s24, exec_lo, s25
	s_cbranch_execz .LBB4_828
; %bb.528:                              ;   in Loop: Header=BB4_504 Depth=2
	v_cmp_eq_u16_sdwa s26, v82, v40 src0_sel:BYTE_0 src1_sel:DWORD
	s_mov_b32 s23, -1
	s_and_saveexec_b32 s25, s26
; %bb.529:                              ;   in Loop: Header=BB4_504 Depth=2
	s_xor_b32 s23, exec_lo, -1
; %bb.530:                              ;   in Loop: Header=BB4_504 Depth=2
	s_or_b32 exec_lo, exec_lo, s25
	s_and_b32 s23, s23, exec_lo
	s_or_saveexec_b32 s24, s24
	v_mov_b32_e32 v52, 0x7f800001
	s_xor_b32 exec_lo, exec_lo, s24
	s_cbranch_execnz .LBB4_829
.LBB4_531:                              ;   in Loop: Header=BB4_504 Depth=2
	s_or_b32 exec_lo, exec_lo, s24
	s_and_saveexec_b32 s24, s23
	s_cbranch_execz .LBB4_533
.LBB4_532:                              ;   in Loop: Header=BB4_504 Depth=2
	v_and_b32_e32 v52, 3, v82
	v_bfe_u32 v47, v82, 2, 5
	v_lshlrev_b32_e32 v56, 24, v82
	v_ffbh_u32_e32 v81, v52
	v_cmp_eq_u32_e32 vcc_lo, 0, v47
	v_min_u32_e32 v81, 32, v81
	v_subrev_nc_u32_e32 v46, 29, v81
	v_sub_nc_u32_e32 v81, 30, v81
	v_lshlrev_b32_e32 v46, v46, v82
	v_cndmask_b32_e32 v81, v47, v81, vcc_lo
	v_and_b32_e32 v46, 3, v46
	v_lshl_add_u32 v81, v81, 23, 0x37800000
	v_cndmask_b32_e32 v52, v52, v46, vcc_lo
	v_and_b32_e32 v46, 0x80000000, v56
	v_lshlrev_b32_e32 v52, 21, v52
	v_or3_b32 v52, v46, v81, v52
.LBB4_533:                              ;   in Loop: Header=BB4_504 Depth=2
	s_or_b32 exec_lo, exec_lo, s24
	v_max_f32_e32 v52, v52, v52
	v_max_f32_e32 v18, v18, v18
	;; [unrolled: 1-line block ×3, first 2 shown]
.LBB4_534:                              ;   in Loop: Header=BB4_504 Depth=2
	s_andn2_saveexec_b32 s11, s11
	s_cbranch_execz .LBB4_548
; %bb.535:                              ;   in Loop: Header=BB4_504 Depth=2
	v_cmp_gt_i16_sdwa s24, v17, v119 src0_sel:BYTE_0 src1_sel:DWORD
	s_mov_b32 s23, 0
	s_and_saveexec_b32 s25, s24
	s_xor_b32 s24, exec_lo, s25
	s_cbranch_execz .LBB4_830
; %bb.536:                              ;   in Loop: Header=BB4_504 Depth=2
	v_cmp_eq_u16_sdwa s26, v17, v40 src0_sel:BYTE_0 src1_sel:DWORD
	s_mov_b32 s23, -1
	s_and_saveexec_b32 s25, s26
; %bb.537:                              ;   in Loop: Header=BB4_504 Depth=2
	s_xor_b32 s23, exec_lo, -1
; %bb.538:                              ;   in Loop: Header=BB4_504 Depth=2
	s_or_b32 exec_lo, exec_lo, s25
	s_and_b32 s23, s23, exec_lo
	s_or_saveexec_b32 s24, s24
	v_mov_b32_e32 v18, 0x7f800001
	s_xor_b32 exec_lo, exec_lo, s24
	s_cbranch_execnz .LBB4_831
.LBB4_539:                              ;   in Loop: Header=BB4_504 Depth=2
	s_or_b32 exec_lo, exec_lo, s24
	s_and_saveexec_b32 s24, s23
	s_cbranch_execz .LBB4_541
.LBB4_540:                              ;   in Loop: Header=BB4_504 Depth=2
	v_and_b32_e32 v18, 3, v17
	v_bfe_u32 v46, v17, 2, 5
	v_lshlrev_b32_e32 v47, 24, v17
	v_ffbh_u32_e32 v52, v18
	v_cmp_eq_u32_e32 vcc_lo, 0, v46
	v_min_u32_e32 v52, 32, v52
	v_subrev_nc_u32_e32 v81, 29, v52
	v_sub_nc_u32_e32 v52, 30, v52
	v_lshlrev_b32_e32 v81, v81, v17
	v_cndmask_b32_e32 v52, v46, v52, vcc_lo
	v_and_b32_e32 v81, 3, v81
	v_lshl_add_u32 v52, v52, 23, 0x37800000
	v_cndmask_b32_e32 v18, v18, v81, vcc_lo
	v_and_b32_e32 v81, 0x80000000, v47
	v_lshlrev_b32_e32 v18, 21, v18
	v_or3_b32 v18, v81, v52, v18
.LBB4_541:                              ;   in Loop: Header=BB4_504 Depth=2
	s_or_b32 exec_lo, exec_lo, s24
	v_cmp_gt_i16_sdwa s24, v82, v119 src0_sel:BYTE_0 src1_sel:DWORD
	s_mov_b32 s23, 0
	s_and_saveexec_b32 s25, s24
	s_xor_b32 s24, exec_lo, s25
	s_cbranch_execz .LBB4_832
; %bb.542:                              ;   in Loop: Header=BB4_504 Depth=2
	v_cmp_eq_u16_sdwa s26, v82, v40 src0_sel:BYTE_0 src1_sel:DWORD
	s_mov_b32 s23, -1
	s_and_saveexec_b32 s25, s26
; %bb.543:                              ;   in Loop: Header=BB4_504 Depth=2
	s_xor_b32 s23, exec_lo, -1
; %bb.544:                              ;   in Loop: Header=BB4_504 Depth=2
	s_or_b32 exec_lo, exec_lo, s25
	s_and_b32 s23, s23, exec_lo
	s_or_saveexec_b32 s24, s24
	v_mov_b32_e32 v52, 0x7f800001
	s_xor_b32 exec_lo, exec_lo, s24
	s_cbranch_execnz .LBB4_833
.LBB4_545:                              ;   in Loop: Header=BB4_504 Depth=2
	s_or_b32 exec_lo, exec_lo, s24
	s_and_saveexec_b32 s24, s23
	s_cbranch_execz .LBB4_547
.LBB4_546:                              ;   in Loop: Header=BB4_504 Depth=2
	v_and_b32_e32 v52, 3, v82
	v_bfe_u32 v47, v82, 2, 5
	v_lshlrev_b32_e32 v56, 24, v82
	v_ffbh_u32_e32 v81, v52
	v_cmp_eq_u32_e32 vcc_lo, 0, v47
	v_min_u32_e32 v81, 32, v81
	v_subrev_nc_u32_e32 v46, 29, v81
	v_sub_nc_u32_e32 v81, 30, v81
	v_lshlrev_b32_e32 v46, v46, v82
	v_cndmask_b32_e32 v81, v47, v81, vcc_lo
	v_and_b32_e32 v46, 3, v46
	v_lshl_add_u32 v81, v81, 23, 0x37800000
	v_cndmask_b32_e32 v52, v52, v46, vcc_lo
	v_and_b32_e32 v46, 0x80000000, v56
	v_lshlrev_b32_e32 v52, 21, v52
	v_or3_b32 v52, v46, v81, v52
.LBB4_547:                              ;   in Loop: Header=BB4_504 Depth=2
	s_or_b32 exec_lo, exec_lo, s24
	v_max_f32_e32 v52, v52, v52
	v_max_f32_e32 v18, v18, v18
	v_min_f32_e32 v52, v18, v52
.LBB4_548:                              ;   in Loop: Header=BB4_504 Depth=2
	s_or_b32 exec_lo, exec_lo, s11
	v_and_b32_e32 v18, 0x7f800000, v52
	v_cmp_ne_u32_e32 vcc_lo, 0x7f800000, v18
	v_mov_b32_e32 v18, 0x80
	s_and_saveexec_b32 s23, vcc_lo
	s_cbranch_execz .LBB4_556
; %bb.549:                              ;   in Loop: Header=BB4_504 Depth=2
	v_mov_b32_e32 v18, 0
	s_mov_b32 s24, exec_lo
	v_cmpx_ne_u32_e32 0, v52
	s_cbranch_execz .LBB4_555
; %bb.550:                              ;   in Loop: Header=BB4_504 Depth=2
	v_bfe_u32 v18, v52, 23, 8
	v_and_b32_e32 v81, 0x7fffff, v52
	v_sub_nc_u32_e32 v46, 0x70, v18
	v_cmp_gt_u32_e32 vcc_lo, 0x71, v18
	v_or_b32_e32 v47, 0x800000, v81
	v_cndmask_b32_e32 v46, 0, v46, vcc_lo
	v_cmp_eq_u32_e32 vcc_lo, 0, v18
	v_add_nc_u32_e32 v18, 0xffffff91, v18
	v_cndmask_b32_e64 v46, v46, 0x6f, vcc_lo
	v_cndmask_b32_e32 v81, v47, v81, vcc_lo
	v_cndmask_b32_e64 v18, v18, 0xffffff92, vcc_lo
	v_lshl_add_u32 v47, 0x200000, v46, -1
	v_lshrrev_b32_e32 v56, v46, v81
	v_lshlrev_b32_e64 v58, v46, 0x100000
	v_add_nc_u32_e32 v46, v46, v18
	v_and_b32_e32 v81, v47, v81
	v_bfe_u32 v57, v56, 21, 1
	v_cmp_eq_u32_e64 s11, v81, v58
	v_add_nc_u32_e32 v47, -1, v57
	v_cndmask_b32_e64 v81, 0, v47, s11
	v_lshrrev_b32_e32 v47, 23, v56
	s_mov_b32 s11, exec_lo
	v_add_nc_u32_e32 v81, v81, v56
	v_xor_b32_e32 v47, 1, v47
	v_and_b32_e32 v18, 0x1fffff, v81
	v_add_nc_u32_e32 v81, v18, v56
                                        ; implicit-def: $vgpr18
	v_cmpx_ne_u32_e64 v46, v47
	s_xor_b32 s11, exec_lo, s11
; %bb.551:                              ;   in Loop: Header=BB4_504 Depth=2
	v_cmp_lt_u32_e32 vcc_lo, 0xffffff, v81
	v_sub_nc_u32_e32 v18, v46, v47
	v_cndmask_b32_e64 v46, 0, 1, vcc_lo
	v_add_co_ci_u32_e64 v18, null, 0, v18, vcc_lo
	v_lshrrev_b32_e32 v81, v46, v81
; %bb.552:                              ;   in Loop: Header=BB4_504 Depth=2
	s_andn2_saveexec_b32 s11, s11
; %bb.553:                              ;   in Loop: Header=BB4_504 Depth=2
	v_bfe_u32 v18, v81, 23, 1
; %bb.554:                              ;   in Loop: Header=BB4_504 Depth=2
	s_or_b32 exec_lo, exec_lo, s11
	v_lshrrev_b32_e32 v81, 21, v81
	v_min_i32_e32 v46, 31, v18
	v_cmp_gt_i32_e32 vcc_lo, 32, v18
	v_and_b32_sdwa v52, v52, v40 dst_sel:DWORD dst_unused:UNUSED_PAD src0_sel:BYTE_3 src1_sel:DWORD
	v_lshlrev_b32_e32 v46, 2, v46
	v_cndmask_b32_e32 v81, 3, v81, vcc_lo
	v_and_b32_e32 v46, 0xfc, v46
	v_and_b32_e32 v47, 3, v81
	v_or_b32_e32 v18, v18, v81
	v_or3_b32 v52, v46, v52, v47
	v_cmp_ne_u32_e32 vcc_lo, 0, v18
	v_cndmask_b32_e32 v18, 0, v52, vcc_lo
.LBB4_555:                              ;   in Loop: Header=BB4_504 Depth=2
	s_or_b32 exec_lo, exec_lo, s24
.LBB4_556:                              ;   in Loop: Header=BB4_504 Depth=2
	s_or_b32 exec_lo, exec_lo, s23
                                        ; implicit-def: $vgpr81
	s_and_saveexec_b32 s11, s9
	s_xor_b32 s11, exec_lo, s11
	s_cbranch_execz .LBB4_570
; %bb.557:                              ;   in Loop: Header=BB4_504 Depth=2
	v_cmp_gt_i16_sdwa s24, v17, v119 src0_sel:BYTE_1 src1_sel:DWORD
	s_mov_b32 s23, 0
	s_and_saveexec_b32 s25, s24
	s_xor_b32 s24, exec_lo, s25
	s_cbranch_execz .LBB4_834
; %bb.558:                              ;   in Loop: Header=BB4_504 Depth=2
	v_cmp_eq_u16_sdwa s26, v17, v40 src0_sel:BYTE_1 src1_sel:DWORD
	s_mov_b32 s23, -1
	s_and_saveexec_b32 s25, s26
; %bb.559:                              ;   in Loop: Header=BB4_504 Depth=2
	s_xor_b32 s23, exec_lo, -1
; %bb.560:                              ;   in Loop: Header=BB4_504 Depth=2
	s_or_b32 exec_lo, exec_lo, s25
	s_and_b32 s23, s23, exec_lo
	s_or_saveexec_b32 s24, s24
	v_mov_b32_e32 v52, 0x7f800001
	s_xor_b32 exec_lo, exec_lo, s24
	s_cbranch_execnz .LBB4_835
.LBB4_561:                              ;   in Loop: Header=BB4_504 Depth=2
	s_or_b32 exec_lo, exec_lo, s24
	s_and_saveexec_b32 s24, s23
	s_cbranch_execz .LBB4_563
.LBB4_562:                              ;   in Loop: Header=BB4_504 Depth=2
	v_and_b32_sdwa v52, v41, v17 dst_sel:DWORD dst_unused:UNUSED_PAD src0_sel:DWORD src1_sel:BYTE_1
	v_and_b32_e32 v81, 3, v52
	v_bfe_u32 v56, v52, 2, 5
	v_ffbh_u32_e32 v46, v81
	v_cmp_eq_u32_e32 vcc_lo, 0, v56
	v_min_u32_e32 v46, 32, v46
	v_subrev_nc_u32_e32 v47, 29, v46
	v_sub_nc_u32_e32 v46, 30, v46
	v_lshlrev_b32_e32 v52, v47, v52
	v_lshlrev_b32_e32 v47, 16, v17
	v_cndmask_b32_e32 v46, v56, v46, vcc_lo
	v_and_b32_e32 v52, 3, v52
	v_lshl_add_u32 v46, v46, 23, 0x37800000
	v_cndmask_b32_e32 v52, v81, v52, vcc_lo
	v_and_b32_e32 v81, 0x80000000, v47
	v_lshlrev_b32_e32 v52, 21, v52
	v_or3_b32 v52, v81, v46, v52
.LBB4_563:                              ;   in Loop: Header=BB4_504 Depth=2
	s_or_b32 exec_lo, exec_lo, s24
	v_cmp_gt_i16_sdwa s24, v82, v119 src0_sel:BYTE_1 src1_sel:DWORD
	s_mov_b32 s23, 0
	s_and_saveexec_b32 s25, s24
	s_xor_b32 s24, exec_lo, s25
	s_cbranch_execz .LBB4_836
; %bb.564:                              ;   in Loop: Header=BB4_504 Depth=2
	v_cmp_eq_u16_sdwa s26, v82, v40 src0_sel:BYTE_1 src1_sel:DWORD
	s_mov_b32 s23, -1
	s_and_saveexec_b32 s25, s26
; %bb.565:                              ;   in Loop: Header=BB4_504 Depth=2
	s_xor_b32 s23, exec_lo, -1
; %bb.566:                              ;   in Loop: Header=BB4_504 Depth=2
	s_or_b32 exec_lo, exec_lo, s25
	s_and_b32 s23, s23, exec_lo
	s_or_saveexec_b32 s24, s24
	v_mov_b32_e32 v81, 0x7f800001
	s_xor_b32 exec_lo, exec_lo, s24
	s_cbranch_execnz .LBB4_837
.LBB4_567:                              ;   in Loop: Header=BB4_504 Depth=2
	s_or_b32 exec_lo, exec_lo, s24
	s_and_saveexec_b32 s24, s23
	s_cbranch_execz .LBB4_569
.LBB4_568:                              ;   in Loop: Header=BB4_504 Depth=2
	v_and_b32_sdwa v81, v41, v82 dst_sel:DWORD dst_unused:UNUSED_PAD src0_sel:DWORD src1_sel:BYTE_1
	v_and_b32_e32 v46, 3, v81
	v_bfe_u32 v57, v81, 2, 5
	v_ffbh_u32_e32 v47, v46
	v_cmp_eq_u32_e32 vcc_lo, 0, v57
	v_min_u32_e32 v47, 32, v47
	v_subrev_nc_u32_e32 v56, 29, v47
	v_sub_nc_u32_e32 v47, 30, v47
	v_lshlrev_b32_e32 v81, v56, v81
	v_lshlrev_b32_e32 v56, 16, v82
	v_cndmask_b32_e32 v47, v57, v47, vcc_lo
	v_and_b32_e32 v81, 3, v81
	v_lshl_add_u32 v47, v47, 23, 0x37800000
	v_cndmask_b32_e32 v81, v46, v81, vcc_lo
	v_and_b32_e32 v46, 0x80000000, v56
	v_lshlrev_b32_e32 v81, 21, v81
	v_or3_b32 v81, v46, v47, v81
.LBB4_569:                              ;   in Loop: Header=BB4_504 Depth=2
	s_or_b32 exec_lo, exec_lo, s24
	v_max_f32_e32 v81, v81, v81
	v_max_f32_e32 v52, v52, v52
	;; [unrolled: 1-line block ×3, first 2 shown]
	s_andn2_saveexec_b32 s11, s11
	s_cbranch_execz .LBB4_584
	s_branch .LBB4_571
.LBB4_570:                              ;   in Loop: Header=BB4_504 Depth=2
	s_andn2_saveexec_b32 s11, s11
	s_cbranch_execz .LBB4_584
.LBB4_571:                              ;   in Loop: Header=BB4_504 Depth=2
	v_cmp_gt_i16_sdwa s24, v17, v119 src0_sel:BYTE_1 src1_sel:DWORD
	s_mov_b32 s23, 0
	s_and_saveexec_b32 s25, s24
	s_xor_b32 s24, exec_lo, s25
	s_cbranch_execz .LBB4_838
; %bb.572:                              ;   in Loop: Header=BB4_504 Depth=2
	v_cmp_eq_u16_sdwa s26, v17, v40 src0_sel:BYTE_1 src1_sel:DWORD
	s_mov_b32 s23, -1
	s_and_saveexec_b32 s25, s26
; %bb.573:                              ;   in Loop: Header=BB4_504 Depth=2
	s_xor_b32 s23, exec_lo, -1
; %bb.574:                              ;   in Loop: Header=BB4_504 Depth=2
	s_or_b32 exec_lo, exec_lo, s25
	s_and_b32 s23, s23, exec_lo
	s_or_saveexec_b32 s24, s24
	v_mov_b32_e32 v52, 0x7f800001
	s_xor_b32 exec_lo, exec_lo, s24
	s_cbranch_execnz .LBB4_839
.LBB4_575:                              ;   in Loop: Header=BB4_504 Depth=2
	s_or_b32 exec_lo, exec_lo, s24
	s_and_saveexec_b32 s24, s23
	s_cbranch_execz .LBB4_577
.LBB4_576:                              ;   in Loop: Header=BB4_504 Depth=2
	v_and_b32_sdwa v52, v41, v17 dst_sel:DWORD dst_unused:UNUSED_PAD src0_sel:DWORD src1_sel:BYTE_1
	v_and_b32_e32 v81, 3, v52
	v_bfe_u32 v56, v52, 2, 5
	v_ffbh_u32_e32 v46, v81
	v_cmp_eq_u32_e32 vcc_lo, 0, v56
	v_min_u32_e32 v46, 32, v46
	v_subrev_nc_u32_e32 v47, 29, v46
	v_sub_nc_u32_e32 v46, 30, v46
	v_lshlrev_b32_e32 v52, v47, v52
	v_lshlrev_b32_e32 v47, 16, v17
	v_cndmask_b32_e32 v46, v56, v46, vcc_lo
	v_and_b32_e32 v52, 3, v52
	v_lshl_add_u32 v46, v46, 23, 0x37800000
	v_cndmask_b32_e32 v52, v81, v52, vcc_lo
	v_and_b32_e32 v81, 0x80000000, v47
	v_lshlrev_b32_e32 v52, 21, v52
	v_or3_b32 v52, v81, v46, v52
.LBB4_577:                              ;   in Loop: Header=BB4_504 Depth=2
	s_or_b32 exec_lo, exec_lo, s24
	v_cmp_gt_i16_sdwa s24, v82, v119 src0_sel:BYTE_1 src1_sel:DWORD
	s_mov_b32 s23, 0
	s_and_saveexec_b32 s25, s24
	s_xor_b32 s24, exec_lo, s25
	s_cbranch_execz .LBB4_840
; %bb.578:                              ;   in Loop: Header=BB4_504 Depth=2
	v_cmp_eq_u16_sdwa s26, v82, v40 src0_sel:BYTE_1 src1_sel:DWORD
	s_mov_b32 s23, -1
	s_and_saveexec_b32 s25, s26
; %bb.579:                              ;   in Loop: Header=BB4_504 Depth=2
	s_xor_b32 s23, exec_lo, -1
; %bb.580:                              ;   in Loop: Header=BB4_504 Depth=2
	s_or_b32 exec_lo, exec_lo, s25
	s_and_b32 s23, s23, exec_lo
	s_or_saveexec_b32 s24, s24
	v_mov_b32_e32 v81, 0x7f800001
	s_xor_b32 exec_lo, exec_lo, s24
	s_cbranch_execnz .LBB4_841
.LBB4_581:                              ;   in Loop: Header=BB4_504 Depth=2
	s_or_b32 exec_lo, exec_lo, s24
	s_and_saveexec_b32 s24, s23
	s_cbranch_execz .LBB4_583
.LBB4_582:                              ;   in Loop: Header=BB4_504 Depth=2
	v_and_b32_sdwa v81, v41, v82 dst_sel:DWORD dst_unused:UNUSED_PAD src0_sel:DWORD src1_sel:BYTE_1
	v_and_b32_e32 v46, 3, v81
	v_bfe_u32 v57, v81, 2, 5
	v_ffbh_u32_e32 v47, v46
	v_cmp_eq_u32_e32 vcc_lo, 0, v57
	v_min_u32_e32 v47, 32, v47
	v_subrev_nc_u32_e32 v56, 29, v47
	v_sub_nc_u32_e32 v47, 30, v47
	v_lshlrev_b32_e32 v81, v56, v81
	v_lshlrev_b32_e32 v56, 16, v82
	v_cndmask_b32_e32 v47, v57, v47, vcc_lo
	v_and_b32_e32 v81, 3, v81
	v_lshl_add_u32 v47, v47, 23, 0x37800000
	v_cndmask_b32_e32 v81, v46, v81, vcc_lo
	v_and_b32_e32 v46, 0x80000000, v56
	v_lshlrev_b32_e32 v81, 21, v81
	v_or3_b32 v81, v46, v47, v81
.LBB4_583:                              ;   in Loop: Header=BB4_504 Depth=2
	s_or_b32 exec_lo, exec_lo, s24
	v_max_f32_e32 v81, v81, v81
	v_max_f32_e32 v52, v52, v52
	v_min_f32_e32 v81, v52, v81
.LBB4_584:                              ;   in Loop: Header=BB4_504 Depth=2
	s_or_b32 exec_lo, exec_lo, s11
	v_and_b32_e32 v52, 0x7f800000, v81
	v_cmp_ne_u32_e32 vcc_lo, 0x7f800000, v52
	v_mov_b32_e32 v52, 0x8000
	s_and_saveexec_b32 s23, vcc_lo
	s_cbranch_execz .LBB4_592
; %bb.585:                              ;   in Loop: Header=BB4_504 Depth=2
	v_mov_b32_e32 v52, 0
	s_mov_b32 s24, exec_lo
	v_cmpx_ne_u32_e32 0, v81
	s_cbranch_execz .LBB4_591
; %bb.586:                              ;   in Loop: Header=BB4_504 Depth=2
	v_bfe_u32 v52, v81, 23, 8
	v_and_b32_e32 v46, 0x7fffff, v81
	v_sub_nc_u32_e32 v47, 0x70, v52
	v_cmp_gt_u32_e32 vcc_lo, 0x71, v52
	v_or_b32_e32 v56, 0x800000, v46
	v_cndmask_b32_e32 v47, 0, v47, vcc_lo
	v_cmp_eq_u32_e32 vcc_lo, 0, v52
	v_add_nc_u32_e32 v52, 0xffffff91, v52
	v_cndmask_b32_e64 v47, v47, 0x6f, vcc_lo
	v_cndmask_b32_e32 v46, v56, v46, vcc_lo
	v_cndmask_b32_e64 v52, v52, 0xffffff92, vcc_lo
	v_lshl_add_u32 v56, 0x200000, v47, -1
	v_lshrrev_b32_e32 v57, v47, v46
	v_lshlrev_b32_e64 v59, v47, 0x100000
	v_add_nc_u32_e32 v47, v47, v52
	v_and_b32_e32 v46, v56, v46
	v_bfe_u32 v58, v57, 21, 1
	v_cmp_eq_u32_e64 s11, v46, v59
	v_add_nc_u32_e32 v56, -1, v58
	v_cndmask_b32_e64 v46, 0, v56, s11
	v_lshrrev_b32_e32 v56, 23, v57
	s_mov_b32 s11, exec_lo
	v_add_nc_u32_e32 v46, v46, v57
	v_xor_b32_e32 v56, 1, v56
	v_and_b32_e32 v52, 0x1fffff, v46
	v_add_nc_u32_e32 v46, v52, v57
                                        ; implicit-def: $vgpr52
	v_cmpx_ne_u32_e64 v47, v56
	s_xor_b32 s11, exec_lo, s11
; %bb.587:                              ;   in Loop: Header=BB4_504 Depth=2
	v_cmp_lt_u32_e32 vcc_lo, 0xffffff, v46
	v_sub_nc_u32_e32 v52, v47, v56
	v_cndmask_b32_e64 v47, 0, 1, vcc_lo
	v_add_co_ci_u32_e64 v52, null, 0, v52, vcc_lo
	v_lshrrev_b32_e32 v46, v47, v46
; %bb.588:                              ;   in Loop: Header=BB4_504 Depth=2
	s_andn2_saveexec_b32 s11, s11
; %bb.589:                              ;   in Loop: Header=BB4_504 Depth=2
	v_bfe_u32 v52, v46, 23, 1
; %bb.590:                              ;   in Loop: Header=BB4_504 Depth=2
	s_or_b32 exec_lo, exec_lo, s11
	v_lshrrev_b32_e32 v46, 21, v46
	v_min_i32_e32 v47, 31, v52
	v_cmp_gt_i32_e32 vcc_lo, 32, v52
	v_and_b32_sdwa v81, v81, v40 dst_sel:DWORD dst_unused:UNUSED_PAD src0_sel:BYTE_3 src1_sel:DWORD
	v_lshlrev_b32_e32 v47, 2, v47
	v_cndmask_b32_e32 v46, 3, v46, vcc_lo
	v_and_b32_e32 v47, 0xfc, v47
	v_and_b32_e32 v56, 3, v46
	v_or_b32_e32 v52, v52, v46
	v_or3_b32 v81, v81, v47, v56
	v_cmp_ne_u32_e32 vcc_lo, 0, v52
	v_lshlrev_b32_e32 v81, 8, v81
	v_cndmask_b32_e32 v52, 0, v81, vcc_lo
.LBB4_591:                              ;   in Loop: Header=BB4_504 Depth=2
	s_or_b32 exec_lo, exec_lo, s24
.LBB4_592:                              ;   in Loop: Header=BB4_504 Depth=2
	s_or_b32 exec_lo, exec_lo, s23
                                        ; implicit-def: $vgpr46
	s_and_saveexec_b32 s11, s9
	s_xor_b32 s11, exec_lo, s11
	s_cbranch_execz .LBB4_606
; %bb.593:                              ;   in Loop: Header=BB4_504 Depth=2
	v_and_b32_sdwa v46, v17, v42 dst_sel:DWORD dst_unused:UNUSED_PAD src0_sel:WORD_1 src1_sel:DWORD
	s_mov_b32 s23, 0
	s_mov_b32 s24, exec_lo
	v_cmpx_lt_i16_e32 0x7f, v46
	s_xor_b32 s24, exec_lo, s24
	s_cbranch_execz .LBB4_842
; %bb.594:                              ;   in Loop: Header=BB4_504 Depth=2
	s_mov_b32 s23, -1
	s_mov_b32 s25, exec_lo
	v_cmpx_eq_u16_e32 0x80, v46
; %bb.595:                              ;   in Loop: Header=BB4_504 Depth=2
	s_xor_b32 s23, exec_lo, -1
; %bb.596:                              ;   in Loop: Header=BB4_504 Depth=2
	s_or_b32 exec_lo, exec_lo, s25
	s_and_b32 s23, s23, exec_lo
                                        ; implicit-def: $vgpr46
	s_or_saveexec_b32 s24, s24
	v_mov_b32_e32 v81, 0x7f800001
	s_xor_b32 exec_lo, exec_lo, s24
	s_cbranch_execnz .LBB4_843
.LBB4_597:                              ;   in Loop: Header=BB4_504 Depth=2
	s_or_b32 exec_lo, exec_lo, s24
	s_and_saveexec_b32 s24, s23
	s_cbranch_execz .LBB4_599
.LBB4_598:                              ;   in Loop: Header=BB4_504 Depth=2
	v_bfe_u32 v81, v17, 16, 2
	v_bfe_u32 v56, v17, 18, 5
	v_lshlrev_b32_sdwa v57, v43, v17 dst_sel:DWORD dst_unused:UNUSED_PAD src0_sel:DWORD src1_sel:WORD_1
	v_ffbh_u32_e32 v46, v81
	v_cmp_eq_u32_e32 vcc_lo, 0, v56
	v_min_u32_e32 v46, 32, v46
	v_subrev_nc_u32_e32 v47, 29, v46
	v_sub_nc_u32_e32 v46, 30, v46
	v_lshlrev_b32_sdwa v47, v47, v17 dst_sel:DWORD dst_unused:UNUSED_PAD src0_sel:DWORD src1_sel:WORD_1
	v_cndmask_b32_e32 v46, v56, v46, vcc_lo
	v_and_b32_e32 v47, 3, v47
	v_lshl_add_u32 v46, v46, 23, 0x37800000
	v_cndmask_b32_e32 v81, v81, v47, vcc_lo
	v_and_b32_e32 v47, 0x80000000, v57
	v_lshlrev_b32_e32 v81, 21, v81
	v_or3_b32 v81, v47, v46, v81
.LBB4_599:                              ;   in Loop: Header=BB4_504 Depth=2
	s_or_b32 exec_lo, exec_lo, s24
	v_and_b32_sdwa v47, v82, v42 dst_sel:DWORD dst_unused:UNUSED_PAD src0_sel:WORD_1 src1_sel:DWORD
	s_mov_b32 s23, 0
	s_mov_b32 s24, exec_lo
	v_cmpx_lt_i16_e32 0x7f, v47
	s_xor_b32 s24, exec_lo, s24
	s_cbranch_execz .LBB4_844
; %bb.600:                              ;   in Loop: Header=BB4_504 Depth=2
	s_mov_b32 s23, -1
	s_mov_b32 s25, exec_lo
	v_cmpx_eq_u16_e32 0x80, v47
; %bb.601:                              ;   in Loop: Header=BB4_504 Depth=2
	s_xor_b32 s23, exec_lo, -1
; %bb.602:                              ;   in Loop: Header=BB4_504 Depth=2
	s_or_b32 exec_lo, exec_lo, s25
	s_and_b32 s23, s23, exec_lo
                                        ; implicit-def: $vgpr47
	s_or_saveexec_b32 s24, s24
	v_mov_b32_e32 v46, 0x7f800001
	s_xor_b32 exec_lo, exec_lo, s24
	s_cbranch_execnz .LBB4_845
.LBB4_603:                              ;   in Loop: Header=BB4_504 Depth=2
	s_or_b32 exec_lo, exec_lo, s24
	s_and_saveexec_b32 s24, s23
	s_cbranch_execz .LBB4_605
.LBB4_604:                              ;   in Loop: Header=BB4_504 Depth=2
	v_bfe_u32 v46, v82, 16, 2
	v_bfe_u32 v57, v82, 18, 5
	v_lshlrev_b32_sdwa v58, v43, v82 dst_sel:DWORD dst_unused:UNUSED_PAD src0_sel:DWORD src1_sel:WORD_1
	v_ffbh_u32_e32 v47, v46
	v_cmp_eq_u32_e32 vcc_lo, 0, v57
	v_min_u32_e32 v47, 32, v47
	v_subrev_nc_u32_e32 v56, 29, v47
	v_sub_nc_u32_e32 v47, 30, v47
	v_lshlrev_b32_sdwa v56, v56, v82 dst_sel:DWORD dst_unused:UNUSED_PAD src0_sel:DWORD src1_sel:WORD_1
	v_cndmask_b32_e32 v47, v57, v47, vcc_lo
	v_and_b32_e32 v56, 3, v56
	v_lshl_add_u32 v47, v47, 23, 0x37800000
	v_cndmask_b32_e32 v46, v46, v56, vcc_lo
	v_and_b32_e32 v56, 0x80000000, v58
	v_lshlrev_b32_e32 v46, 21, v46
	v_or3_b32 v46, v56, v47, v46
.LBB4_605:                              ;   in Loop: Header=BB4_504 Depth=2
	s_or_b32 exec_lo, exec_lo, s24
	v_max_f32_e32 v46, v46, v46
	v_max_f32_e32 v81, v81, v81
	;; [unrolled: 1-line block ×3, first 2 shown]
	s_andn2_saveexec_b32 s11, s11
	s_cbranch_execz .LBB4_620
	s_branch .LBB4_607
.LBB4_606:                              ;   in Loop: Header=BB4_504 Depth=2
	s_andn2_saveexec_b32 s11, s11
	s_cbranch_execz .LBB4_620
.LBB4_607:                              ;   in Loop: Header=BB4_504 Depth=2
	v_and_b32_sdwa v46, v17, v42 dst_sel:DWORD dst_unused:UNUSED_PAD src0_sel:WORD_1 src1_sel:DWORD
	s_mov_b32 s23, 0
	s_mov_b32 s24, exec_lo
	v_cmpx_lt_i16_e32 0x7f, v46
	s_xor_b32 s24, exec_lo, s24
	s_cbranch_execz .LBB4_846
; %bb.608:                              ;   in Loop: Header=BB4_504 Depth=2
	s_mov_b32 s23, -1
	s_mov_b32 s25, exec_lo
	v_cmpx_eq_u16_e32 0x80, v46
; %bb.609:                              ;   in Loop: Header=BB4_504 Depth=2
	s_xor_b32 s23, exec_lo, -1
; %bb.610:                              ;   in Loop: Header=BB4_504 Depth=2
	s_or_b32 exec_lo, exec_lo, s25
	s_and_b32 s23, s23, exec_lo
                                        ; implicit-def: $vgpr46
	s_or_saveexec_b32 s24, s24
	v_mov_b32_e32 v81, 0x7f800001
	s_xor_b32 exec_lo, exec_lo, s24
	s_cbranch_execnz .LBB4_847
.LBB4_611:                              ;   in Loop: Header=BB4_504 Depth=2
	s_or_b32 exec_lo, exec_lo, s24
	s_and_saveexec_b32 s24, s23
	s_cbranch_execz .LBB4_613
.LBB4_612:                              ;   in Loop: Header=BB4_504 Depth=2
	v_bfe_u32 v81, v17, 16, 2
	v_bfe_u32 v56, v17, 18, 5
	v_lshlrev_b32_sdwa v57, v43, v17 dst_sel:DWORD dst_unused:UNUSED_PAD src0_sel:DWORD src1_sel:WORD_1
	v_ffbh_u32_e32 v46, v81
	v_cmp_eq_u32_e32 vcc_lo, 0, v56
	v_min_u32_e32 v46, 32, v46
	v_subrev_nc_u32_e32 v47, 29, v46
	v_sub_nc_u32_e32 v46, 30, v46
	v_lshlrev_b32_sdwa v47, v47, v17 dst_sel:DWORD dst_unused:UNUSED_PAD src0_sel:DWORD src1_sel:WORD_1
	v_cndmask_b32_e32 v46, v56, v46, vcc_lo
	v_and_b32_e32 v47, 3, v47
	v_lshl_add_u32 v46, v46, 23, 0x37800000
	v_cndmask_b32_e32 v81, v81, v47, vcc_lo
	v_and_b32_e32 v47, 0x80000000, v57
	v_lshlrev_b32_e32 v81, 21, v81
	v_or3_b32 v81, v47, v46, v81
.LBB4_613:                              ;   in Loop: Header=BB4_504 Depth=2
	s_or_b32 exec_lo, exec_lo, s24
	v_and_b32_sdwa v47, v82, v42 dst_sel:DWORD dst_unused:UNUSED_PAD src0_sel:WORD_1 src1_sel:DWORD
	s_mov_b32 s23, 0
	s_mov_b32 s24, exec_lo
	v_cmpx_lt_i16_e32 0x7f, v47
	s_xor_b32 s24, exec_lo, s24
	s_cbranch_execz .LBB4_848
; %bb.614:                              ;   in Loop: Header=BB4_504 Depth=2
	s_mov_b32 s23, -1
	s_mov_b32 s25, exec_lo
	v_cmpx_eq_u16_e32 0x80, v47
; %bb.615:                              ;   in Loop: Header=BB4_504 Depth=2
	s_xor_b32 s23, exec_lo, -1
; %bb.616:                              ;   in Loop: Header=BB4_504 Depth=2
	s_or_b32 exec_lo, exec_lo, s25
	s_and_b32 s23, s23, exec_lo
                                        ; implicit-def: $vgpr47
	s_or_saveexec_b32 s24, s24
	v_mov_b32_e32 v46, 0x7f800001
	s_xor_b32 exec_lo, exec_lo, s24
	s_cbranch_execnz .LBB4_849
.LBB4_617:                              ;   in Loop: Header=BB4_504 Depth=2
	s_or_b32 exec_lo, exec_lo, s24
	s_and_saveexec_b32 s24, s23
	s_cbranch_execz .LBB4_619
.LBB4_618:                              ;   in Loop: Header=BB4_504 Depth=2
	v_bfe_u32 v46, v82, 16, 2
	v_bfe_u32 v57, v82, 18, 5
	v_lshlrev_b32_sdwa v58, v43, v82 dst_sel:DWORD dst_unused:UNUSED_PAD src0_sel:DWORD src1_sel:WORD_1
	v_ffbh_u32_e32 v47, v46
	v_cmp_eq_u32_e32 vcc_lo, 0, v57
	v_min_u32_e32 v47, 32, v47
	v_subrev_nc_u32_e32 v56, 29, v47
	v_sub_nc_u32_e32 v47, 30, v47
	v_lshlrev_b32_sdwa v56, v56, v82 dst_sel:DWORD dst_unused:UNUSED_PAD src0_sel:DWORD src1_sel:WORD_1
	v_cndmask_b32_e32 v47, v57, v47, vcc_lo
	v_and_b32_e32 v56, 3, v56
	v_lshl_add_u32 v47, v47, 23, 0x37800000
	v_cndmask_b32_e32 v46, v46, v56, vcc_lo
	v_and_b32_e32 v56, 0x80000000, v58
	v_lshlrev_b32_e32 v46, 21, v46
	v_or3_b32 v46, v56, v47, v46
.LBB4_619:                              ;   in Loop: Header=BB4_504 Depth=2
	s_or_b32 exec_lo, exec_lo, s24
	v_max_f32_e32 v46, v46, v46
	v_max_f32_e32 v81, v81, v81
	v_min_f32_e32 v46, v81, v46
.LBB4_620:                              ;   in Loop: Header=BB4_504 Depth=2
	s_or_b32 exec_lo, exec_lo, s11
	v_and_b32_e32 v81, 0x7f800000, v46
	v_cmp_ne_u32_e32 vcc_lo, 0x7f800000, v81
	v_mov_b32_e32 v81, 0x80
	s_and_saveexec_b32 s23, vcc_lo
	s_cbranch_execz .LBB4_628
; %bb.621:                              ;   in Loop: Header=BB4_504 Depth=2
	v_mov_b32_e32 v81, 0
	s_mov_b32 s24, exec_lo
	v_cmpx_ne_u32_e32 0, v46
	s_cbranch_execz .LBB4_627
; %bb.622:                              ;   in Loop: Header=BB4_504 Depth=2
	v_bfe_u32 v81, v46, 23, 8
	v_and_b32_e32 v47, 0x7fffff, v46
	v_sub_nc_u32_e32 v56, 0x70, v81
	v_cmp_gt_u32_e32 vcc_lo, 0x71, v81
	v_or_b32_e32 v57, 0x800000, v47
	v_cndmask_b32_e32 v56, 0, v56, vcc_lo
	v_cmp_eq_u32_e32 vcc_lo, 0, v81
	v_add_nc_u32_e32 v81, 0xffffff91, v81
	v_cndmask_b32_e64 v56, v56, 0x6f, vcc_lo
	v_cndmask_b32_e32 v47, v57, v47, vcc_lo
	v_cndmask_b32_e64 v81, v81, 0xffffff92, vcc_lo
	v_lshl_add_u32 v57, 0x200000, v56, -1
	v_lshrrev_b32_e32 v58, v56, v47
	v_lshlrev_b32_e64 v60, v56, 0x100000
	v_add_nc_u32_e32 v56, v56, v81
	v_and_b32_e32 v47, v57, v47
	v_bfe_u32 v59, v58, 21, 1
	v_cmp_eq_u32_e64 s11, v47, v60
	v_add_nc_u32_e32 v57, -1, v59
	v_cndmask_b32_e64 v47, 0, v57, s11
	v_lshrrev_b32_e32 v57, 23, v58
	s_mov_b32 s11, exec_lo
	v_add_nc_u32_e32 v47, v47, v58
	v_xor_b32_e32 v57, 1, v57
	v_and_b32_e32 v81, 0x1fffff, v47
	v_add_nc_u32_e32 v47, v81, v58
                                        ; implicit-def: $vgpr81
	v_cmpx_ne_u32_e64 v56, v57
	s_xor_b32 s11, exec_lo, s11
; %bb.623:                              ;   in Loop: Header=BB4_504 Depth=2
	v_cmp_lt_u32_e32 vcc_lo, 0xffffff, v47
	v_sub_nc_u32_e32 v81, v56, v57
	v_cndmask_b32_e64 v56, 0, 1, vcc_lo
	v_add_co_ci_u32_e64 v81, null, 0, v81, vcc_lo
	v_lshrrev_b32_e32 v47, v56, v47
; %bb.624:                              ;   in Loop: Header=BB4_504 Depth=2
	s_andn2_saveexec_b32 s11, s11
; %bb.625:                              ;   in Loop: Header=BB4_504 Depth=2
	v_bfe_u32 v81, v47, 23, 1
; %bb.626:                              ;   in Loop: Header=BB4_504 Depth=2
	s_or_b32 exec_lo, exec_lo, s11
	v_lshrrev_b32_e32 v47, 21, v47
	v_min_i32_e32 v56, 31, v81
	v_cmp_gt_i32_e32 vcc_lo, 32, v81
	v_and_b32_sdwa v46, v46, v40 dst_sel:DWORD dst_unused:UNUSED_PAD src0_sel:BYTE_3 src1_sel:DWORD
	v_lshlrev_b32_e32 v56, 2, v56
	v_cndmask_b32_e32 v47, 3, v47, vcc_lo
	v_and_b32_e32 v56, 0xfc, v56
	v_and_b32_e32 v57, 3, v47
	v_or_b32_e32 v81, v81, v47
	v_or3_b32 v46, v56, v46, v57
	v_cmp_ne_u32_e32 vcc_lo, 0, v81
	v_cndmask_b32_e32 v81, 0, v46, vcc_lo
.LBB4_627:                              ;   in Loop: Header=BB4_504 Depth=2
	s_or_b32 exec_lo, exec_lo, s24
.LBB4_628:                              ;   in Loop: Header=BB4_504 Depth=2
	s_or_b32 exec_lo, exec_lo, s23
                                        ; implicit-def: $vgpr46
	s_and_saveexec_b32 s11, s9
	s_xor_b32 s11, exec_lo, s11
	s_cbranch_execz .LBB4_642
; %bb.629:                              ;   in Loop: Header=BB4_504 Depth=2
	v_cmp_gt_i16_sdwa s24, v17, v119 src0_sel:BYTE_3 src1_sel:DWORD
	s_mov_b32 s23, 0
	s_and_saveexec_b32 s25, s24
	s_xor_b32 s24, exec_lo, s25
	s_cbranch_execz .LBB4_850
; %bb.630:                              ;   in Loop: Header=BB4_504 Depth=2
	v_cmp_eq_u16_sdwa s26, v17, v40 src0_sel:BYTE_3 src1_sel:DWORD
	s_mov_b32 s23, -1
	s_and_saveexec_b32 s25, s26
; %bb.631:                              ;   in Loop: Header=BB4_504 Depth=2
	s_xor_b32 s23, exec_lo, -1
; %bb.632:                              ;   in Loop: Header=BB4_504 Depth=2
	s_or_b32 exec_lo, exec_lo, s25
	s_and_b32 s23, s23, exec_lo
	s_or_saveexec_b32 s24, s24
	v_mov_b32_e32 v46, 0x7f800001
	s_xor_b32 exec_lo, exec_lo, s24
	s_cbranch_execnz .LBB4_851
.LBB4_633:                              ;   in Loop: Header=BB4_504 Depth=2
	s_or_b32 exec_lo, exec_lo, s24
	s_and_saveexec_b32 s24, s23
	s_cbranch_execz .LBB4_635
.LBB4_634:                              ;   in Loop: Header=BB4_504 Depth=2
	v_bfe_u32 v46, v17, 24, 2
	v_bfe_u32 v57, v17, 26, 5
	v_ffbh_u32_e32 v47, v46
	v_cmp_eq_u32_e32 vcc_lo, 0, v57
	v_min_u32_e32 v47, 32, v47
	v_subrev_nc_u32_e32 v56, 29, v47
	v_sub_nc_u32_e32 v47, 30, v47
	v_lshlrev_b32_sdwa v56, v56, v17 dst_sel:DWORD dst_unused:UNUSED_PAD src0_sel:DWORD src1_sel:BYTE_3
	v_cndmask_b32_e32 v47, v57, v47, vcc_lo
	v_and_b32_e32 v17, 0x80000000, v17
	v_and_b32_e32 v56, 3, v56
	v_lshl_add_u32 v47, v47, 23, 0x37800000
	v_cndmask_b32_e32 v46, v46, v56, vcc_lo
	v_lshlrev_b32_e32 v46, 21, v46
	v_or3_b32 v46, v17, v47, v46
.LBB4_635:                              ;   in Loop: Header=BB4_504 Depth=2
	s_or_b32 exec_lo, exec_lo, s24
	v_cmp_gt_i16_sdwa s24, v82, v119 src0_sel:BYTE_3 src1_sel:DWORD
	s_mov_b32 s23, 0
	s_and_saveexec_b32 s25, s24
	s_xor_b32 s24, exec_lo, s25
	s_cbranch_execz .LBB4_852
; %bb.636:                              ;   in Loop: Header=BB4_504 Depth=2
	v_cmp_eq_u16_sdwa s26, v82, v40 src0_sel:BYTE_3 src1_sel:DWORD
	s_mov_b32 s23, -1
	s_and_saveexec_b32 s25, s26
; %bb.637:                              ;   in Loop: Header=BB4_504 Depth=2
	s_xor_b32 s23, exec_lo, -1
; %bb.638:                              ;   in Loop: Header=BB4_504 Depth=2
	s_or_b32 exec_lo, exec_lo, s25
	s_and_b32 s23, s23, exec_lo
	s_or_saveexec_b32 s24, s24
	v_mov_b32_e32 v17, 0x7f800001
	s_xor_b32 exec_lo, exec_lo, s24
	s_cbranch_execnz .LBB4_853
.LBB4_639:                              ;   in Loop: Header=BB4_504 Depth=2
	s_or_b32 exec_lo, exec_lo, s24
	s_and_saveexec_b32 s24, s23
	s_cbranch_execz .LBB4_641
.LBB4_640:                              ;   in Loop: Header=BB4_504 Depth=2
	v_bfe_u32 v17, v82, 24, 2
	v_bfe_u32 v57, v82, 26, 5
	v_ffbh_u32_e32 v47, v17
	v_cmp_eq_u32_e32 vcc_lo, 0, v57
	v_min_u32_e32 v47, 32, v47
	v_subrev_nc_u32_e32 v56, 29, v47
	v_sub_nc_u32_e32 v47, 30, v47
	v_lshlrev_b32_sdwa v56, v56, v82 dst_sel:DWORD dst_unused:UNUSED_PAD src0_sel:DWORD src1_sel:BYTE_3
	v_cndmask_b32_e32 v47, v57, v47, vcc_lo
	v_and_b32_e32 v82, 0x80000000, v82
	v_and_b32_e32 v56, 3, v56
	v_lshl_add_u32 v47, v47, 23, 0x37800000
	v_cndmask_b32_e32 v17, v17, v56, vcc_lo
	v_lshlrev_b32_e32 v17, 21, v17
	v_or3_b32 v17, v82, v47, v17
.LBB4_641:                              ;   in Loop: Header=BB4_504 Depth=2
	s_or_b32 exec_lo, exec_lo, s24
	v_max_f32_e32 v17, v17, v17
	v_max_f32_e32 v82, v46, v46
	v_max_f32_e32 v46, v82, v17
                                        ; implicit-def: $vgpr82
	s_andn2_saveexec_b32 s11, s11
	s_cbranch_execz .LBB4_656
	s_branch .LBB4_643
.LBB4_642:                              ;   in Loop: Header=BB4_504 Depth=2
	s_andn2_saveexec_b32 s11, s11
	s_cbranch_execz .LBB4_656
.LBB4_643:                              ;   in Loop: Header=BB4_504 Depth=2
	v_cmp_gt_i16_sdwa s24, v17, v119 src0_sel:BYTE_3 src1_sel:DWORD
	s_mov_b32 s23, 0
	s_and_saveexec_b32 s25, s24
	s_xor_b32 s24, exec_lo, s25
	s_cbranch_execz .LBB4_854
; %bb.644:                              ;   in Loop: Header=BB4_504 Depth=2
	v_cmp_eq_u16_sdwa s26, v17, v40 src0_sel:BYTE_3 src1_sel:DWORD
	s_mov_b32 s23, -1
	s_and_saveexec_b32 s25, s26
; %bb.645:                              ;   in Loop: Header=BB4_504 Depth=2
	s_xor_b32 s23, exec_lo, -1
; %bb.646:                              ;   in Loop: Header=BB4_504 Depth=2
	s_or_b32 exec_lo, exec_lo, s25
	s_and_b32 s23, s23, exec_lo
	s_or_saveexec_b32 s24, s24
	v_mov_b32_e32 v46, 0x7f800001
	s_xor_b32 exec_lo, exec_lo, s24
	s_cbranch_execnz .LBB4_855
.LBB4_647:                              ;   in Loop: Header=BB4_504 Depth=2
	s_or_b32 exec_lo, exec_lo, s24
	s_and_saveexec_b32 s24, s23
	s_cbranch_execz .LBB4_649
.LBB4_648:                              ;   in Loop: Header=BB4_504 Depth=2
	v_bfe_u32 v46, v17, 24, 2
	v_bfe_u32 v57, v17, 26, 5
	v_ffbh_u32_e32 v47, v46
	v_cmp_eq_u32_e32 vcc_lo, 0, v57
	v_min_u32_e32 v47, 32, v47
	v_subrev_nc_u32_e32 v56, 29, v47
	v_sub_nc_u32_e32 v47, 30, v47
	v_lshlrev_b32_sdwa v56, v56, v17 dst_sel:DWORD dst_unused:UNUSED_PAD src0_sel:DWORD src1_sel:BYTE_3
	v_cndmask_b32_e32 v47, v57, v47, vcc_lo
	v_and_b32_e32 v17, 0x80000000, v17
	v_and_b32_e32 v56, 3, v56
	v_lshl_add_u32 v47, v47, 23, 0x37800000
	v_cndmask_b32_e32 v46, v46, v56, vcc_lo
	v_lshlrev_b32_e32 v46, 21, v46
	v_or3_b32 v46, v17, v47, v46
.LBB4_649:                              ;   in Loop: Header=BB4_504 Depth=2
	s_or_b32 exec_lo, exec_lo, s24
	v_cmp_gt_i16_sdwa s24, v82, v119 src0_sel:BYTE_3 src1_sel:DWORD
	s_mov_b32 s23, 0
	s_and_saveexec_b32 s25, s24
	s_xor_b32 s24, exec_lo, s25
	s_cbranch_execz .LBB4_856
; %bb.650:                              ;   in Loop: Header=BB4_504 Depth=2
	v_cmp_eq_u16_sdwa s26, v82, v40 src0_sel:BYTE_3 src1_sel:DWORD
	s_mov_b32 s23, -1
	s_and_saveexec_b32 s25, s26
; %bb.651:                              ;   in Loop: Header=BB4_504 Depth=2
	s_xor_b32 s23, exec_lo, -1
; %bb.652:                              ;   in Loop: Header=BB4_504 Depth=2
	s_or_b32 exec_lo, exec_lo, s25
	s_and_b32 s23, s23, exec_lo
	s_or_saveexec_b32 s24, s24
	v_mov_b32_e32 v17, 0x7f800001
	s_xor_b32 exec_lo, exec_lo, s24
	s_cbranch_execnz .LBB4_857
.LBB4_653:                              ;   in Loop: Header=BB4_504 Depth=2
	s_or_b32 exec_lo, exec_lo, s24
	s_and_saveexec_b32 s24, s23
	s_cbranch_execz .LBB4_655
.LBB4_654:                              ;   in Loop: Header=BB4_504 Depth=2
	v_bfe_u32 v17, v82, 24, 2
	v_bfe_u32 v57, v82, 26, 5
	v_ffbh_u32_e32 v47, v17
	v_cmp_eq_u32_e32 vcc_lo, 0, v57
	v_min_u32_e32 v47, 32, v47
	v_subrev_nc_u32_e32 v56, 29, v47
	v_sub_nc_u32_e32 v47, 30, v47
	v_lshlrev_b32_sdwa v56, v56, v82 dst_sel:DWORD dst_unused:UNUSED_PAD src0_sel:DWORD src1_sel:BYTE_3
	v_cndmask_b32_e32 v47, v57, v47, vcc_lo
	v_and_b32_e32 v82, 0x80000000, v82
	v_and_b32_e32 v56, 3, v56
	v_lshl_add_u32 v47, v47, 23, 0x37800000
	v_cndmask_b32_e32 v17, v17, v56, vcc_lo
	v_lshlrev_b32_e32 v17, 21, v17
	v_or3_b32 v17, v82, v47, v17
.LBB4_655:                              ;   in Loop: Header=BB4_504 Depth=2
	s_or_b32 exec_lo, exec_lo, s24
	v_max_f32_e32 v17, v17, v17
	v_max_f32_e32 v82, v46, v46
	v_min_f32_e32 v46, v82, v17
.LBB4_656:                              ;   in Loop: Header=BB4_504 Depth=2
	s_or_b32 exec_lo, exec_lo, s11
	v_and_b32_e32 v17, 0x7f800000, v46
	v_cmp_ne_u32_e32 vcc_lo, 0x7f800000, v17
	v_mov_b32_e32 v17, 0x8000
	s_and_saveexec_b32 s23, vcc_lo
	s_cbranch_execz .LBB4_664
; %bb.657:                              ;   in Loop: Header=BB4_504 Depth=2
	v_mov_b32_e32 v17, 0
	s_mov_b32 s24, exec_lo
	v_cmpx_ne_u32_e32 0, v46
	s_cbranch_execz .LBB4_663
; %bb.658:                              ;   in Loop: Header=BB4_504 Depth=2
	v_bfe_u32 v17, v46, 23, 8
	v_and_b32_e32 v82, 0x7fffff, v46
	v_sub_nc_u32_e32 v47, 0x70, v17
	v_cmp_gt_u32_e32 vcc_lo, 0x71, v17
	v_or_b32_e32 v56, 0x800000, v82
	v_cndmask_b32_e32 v47, 0, v47, vcc_lo
	v_cmp_eq_u32_e32 vcc_lo, 0, v17
	v_add_nc_u32_e32 v17, 0xffffff91, v17
	v_cndmask_b32_e64 v47, v47, 0x6f, vcc_lo
	v_cndmask_b32_e32 v82, v56, v82, vcc_lo
	v_cndmask_b32_e64 v17, v17, 0xffffff92, vcc_lo
	v_lshl_add_u32 v56, 0x200000, v47, -1
	v_lshrrev_b32_e32 v57, v47, v82
	v_lshlrev_b32_e64 v59, v47, 0x100000
	v_add_nc_u32_e32 v47, v47, v17
	v_and_b32_e32 v82, v56, v82
	v_bfe_u32 v58, v57, 21, 1
	v_cmp_eq_u32_e64 s11, v82, v59
	v_add_nc_u32_e32 v56, -1, v58
	v_cndmask_b32_e64 v82, 0, v56, s11
	v_lshrrev_b32_e32 v56, 23, v57
	s_mov_b32 s11, exec_lo
	v_add_nc_u32_e32 v82, v82, v57
	v_xor_b32_e32 v56, 1, v56
	v_and_b32_e32 v17, 0x1fffff, v82
	v_add_nc_u32_e32 v82, v17, v57
                                        ; implicit-def: $vgpr17
	v_cmpx_ne_u32_e64 v47, v56
	s_xor_b32 s11, exec_lo, s11
; %bb.659:                              ;   in Loop: Header=BB4_504 Depth=2
	v_cmp_lt_u32_e32 vcc_lo, 0xffffff, v82
	v_sub_nc_u32_e32 v17, v47, v56
	v_cndmask_b32_e64 v47, 0, 1, vcc_lo
	v_add_co_ci_u32_e64 v17, null, 0, v17, vcc_lo
	v_lshrrev_b32_e32 v82, v47, v82
; %bb.660:                              ;   in Loop: Header=BB4_504 Depth=2
	s_andn2_saveexec_b32 s11, s11
; %bb.661:                              ;   in Loop: Header=BB4_504 Depth=2
	v_bfe_u32 v17, v82, 23, 1
; %bb.662:                              ;   in Loop: Header=BB4_504 Depth=2
	s_or_b32 exec_lo, exec_lo, s11
	v_lshrrev_b32_e32 v82, 21, v82
	v_min_i32_e32 v47, 31, v17
	v_cmp_gt_i32_e32 vcc_lo, 32, v17
	v_and_b32_sdwa v46, v46, v40 dst_sel:DWORD dst_unused:UNUSED_PAD src0_sel:BYTE_3 src1_sel:DWORD
	v_lshlrev_b32_e32 v47, 2, v47
	v_cndmask_b32_e32 v82, 3, v82, vcc_lo
	v_and_b32_e32 v47, 0xfc, v47
	v_and_b32_e32 v56, 3, v82
	v_or_b32_e32 v17, v17, v82
	v_or3_b32 v46, v46, v47, v56
	v_cmp_ne_u32_e32 vcc_lo, 0, v17
	v_lshlrev_b32_e32 v82, 8, v46
	v_cndmask_b32_e32 v17, 0, v82, vcc_lo
.LBB4_663:                              ;   in Loop: Header=BB4_504 Depth=2
	s_or_b32 exec_lo, exec_lo, s24
.LBB4_664:                              ;   in Loop: Header=BB4_504 Depth=2
	s_or_b32 exec_lo, exec_lo, s23
	v_alignbit_b32 v82, v96, v97, v20
                                        ; implicit-def: $vgpr20
	s_and_saveexec_b32 s11, s9
	s_xor_b32 s11, exec_lo, s11
	s_cbranch_execz .LBB4_678
; %bb.665:                              ;   in Loop: Header=BB4_504 Depth=2
	v_cmp_gt_i16_sdwa s24, v19, v119 src0_sel:BYTE_0 src1_sel:DWORD
	s_mov_b32 s23, 0
	s_and_saveexec_b32 s25, s24
	s_xor_b32 s24, exec_lo, s25
	s_cbranch_execz .LBB4_858
; %bb.666:                              ;   in Loop: Header=BB4_504 Depth=2
	v_cmp_eq_u16_sdwa s26, v19, v40 src0_sel:BYTE_0 src1_sel:DWORD
	s_mov_b32 s23, -1
	s_and_saveexec_b32 s25, s26
; %bb.667:                              ;   in Loop: Header=BB4_504 Depth=2
	s_xor_b32 s23, exec_lo, -1
; %bb.668:                              ;   in Loop: Header=BB4_504 Depth=2
	s_or_b32 exec_lo, exec_lo, s25
	s_and_b32 s23, s23, exec_lo
	s_or_saveexec_b32 s24, s24
	v_mov_b32_e32 v20, 0x7f800001
	s_xor_b32 exec_lo, exec_lo, s24
	s_cbranch_execnz .LBB4_859
.LBB4_669:                              ;   in Loop: Header=BB4_504 Depth=2
	s_or_b32 exec_lo, exec_lo, s24
	s_and_saveexec_b32 s24, s23
	s_cbranch_execz .LBB4_671
.LBB4_670:                              ;   in Loop: Header=BB4_504 Depth=2
	v_and_b32_e32 v20, 3, v19
	v_bfe_u32 v46, v19, 2, 5
	v_lshlrev_b32_e32 v47, 24, v19
	v_ffbh_u32_e32 v96, v20
	v_cmp_eq_u32_e32 vcc_lo, 0, v46
	v_min_u32_e32 v96, 32, v96
	v_subrev_nc_u32_e32 v97, 29, v96
	v_sub_nc_u32_e32 v96, 30, v96
	v_lshlrev_b32_e32 v97, v97, v19
	v_cndmask_b32_e32 v96, v46, v96, vcc_lo
	v_and_b32_e32 v97, 3, v97
	v_lshl_add_u32 v96, v96, 23, 0x37800000
	v_cndmask_b32_e32 v20, v20, v97, vcc_lo
	v_and_b32_e32 v97, 0x80000000, v47
	v_lshlrev_b32_e32 v20, 21, v20
	v_or3_b32 v20, v97, v96, v20
.LBB4_671:                              ;   in Loop: Header=BB4_504 Depth=2
	s_or_b32 exec_lo, exec_lo, s24
	v_cmp_gt_i16_sdwa s24, v82, v119 src0_sel:BYTE_0 src1_sel:DWORD
	s_mov_b32 s23, 0
	s_and_saveexec_b32 s25, s24
	s_xor_b32 s24, exec_lo, s25
	s_cbranch_execz .LBB4_860
; %bb.672:                              ;   in Loop: Header=BB4_504 Depth=2
	v_cmp_eq_u16_sdwa s26, v82, v40 src0_sel:BYTE_0 src1_sel:DWORD
	s_mov_b32 s23, -1
	s_and_saveexec_b32 s25, s26
; %bb.673:                              ;   in Loop: Header=BB4_504 Depth=2
	s_xor_b32 s23, exec_lo, -1
; %bb.674:                              ;   in Loop: Header=BB4_504 Depth=2
	s_or_b32 exec_lo, exec_lo, s25
	s_and_b32 s23, s23, exec_lo
	s_or_saveexec_b32 s24, s24
	v_mov_b32_e32 v96, 0x7f800001
	s_xor_b32 exec_lo, exec_lo, s24
	s_cbranch_execnz .LBB4_861
.LBB4_675:                              ;   in Loop: Header=BB4_504 Depth=2
	s_or_b32 exec_lo, exec_lo, s24
	s_and_saveexec_b32 s24, s23
	s_cbranch_execz .LBB4_677
.LBB4_676:                              ;   in Loop: Header=BB4_504 Depth=2
	v_and_b32_e32 v96, 3, v82
	v_bfe_u32 v47, v82, 2, 5
	v_lshlrev_b32_e32 v56, 24, v82
	v_ffbh_u32_e32 v97, v96
	v_cmp_eq_u32_e32 vcc_lo, 0, v47
	v_min_u32_e32 v97, 32, v97
	v_subrev_nc_u32_e32 v46, 29, v97
	v_sub_nc_u32_e32 v97, 30, v97
	v_lshlrev_b32_e32 v46, v46, v82
	v_cndmask_b32_e32 v97, v47, v97, vcc_lo
	v_and_b32_e32 v46, 3, v46
	v_lshl_add_u32 v97, v97, 23, 0x37800000
	v_cndmask_b32_e32 v96, v96, v46, vcc_lo
	v_and_b32_e32 v46, 0x80000000, v56
	v_lshlrev_b32_e32 v96, 21, v96
	v_or3_b32 v96, v46, v97, v96
.LBB4_677:                              ;   in Loop: Header=BB4_504 Depth=2
	s_or_b32 exec_lo, exec_lo, s24
	v_max_f32_e32 v96, v96, v96
	v_max_f32_e32 v20, v20, v20
	v_max_f32_e32 v20, v20, v96
.LBB4_678:                              ;   in Loop: Header=BB4_504 Depth=2
	s_andn2_saveexec_b32 s11, s11
	s_cbranch_execz .LBB4_692
; %bb.679:                              ;   in Loop: Header=BB4_504 Depth=2
	v_cmp_gt_i16_sdwa s24, v19, v119 src0_sel:BYTE_0 src1_sel:DWORD
	s_mov_b32 s23, 0
	s_and_saveexec_b32 s25, s24
	s_xor_b32 s24, exec_lo, s25
	s_cbranch_execz .LBB4_862
; %bb.680:                              ;   in Loop: Header=BB4_504 Depth=2
	v_cmp_eq_u16_sdwa s26, v19, v40 src0_sel:BYTE_0 src1_sel:DWORD
	s_mov_b32 s23, -1
	s_and_saveexec_b32 s25, s26
; %bb.681:                              ;   in Loop: Header=BB4_504 Depth=2
	s_xor_b32 s23, exec_lo, -1
; %bb.682:                              ;   in Loop: Header=BB4_504 Depth=2
	s_or_b32 exec_lo, exec_lo, s25
	s_and_b32 s23, s23, exec_lo
	s_or_saveexec_b32 s24, s24
	v_mov_b32_e32 v20, 0x7f800001
	s_xor_b32 exec_lo, exec_lo, s24
	s_cbranch_execnz .LBB4_863
.LBB4_683:                              ;   in Loop: Header=BB4_504 Depth=2
	s_or_b32 exec_lo, exec_lo, s24
	s_and_saveexec_b32 s24, s23
	s_cbranch_execz .LBB4_685
.LBB4_684:                              ;   in Loop: Header=BB4_504 Depth=2
	v_and_b32_e32 v20, 3, v19
	v_bfe_u32 v46, v19, 2, 5
	v_lshlrev_b32_e32 v47, 24, v19
	v_ffbh_u32_e32 v96, v20
	v_cmp_eq_u32_e32 vcc_lo, 0, v46
	v_min_u32_e32 v96, 32, v96
	v_subrev_nc_u32_e32 v97, 29, v96
	v_sub_nc_u32_e32 v96, 30, v96
	v_lshlrev_b32_e32 v97, v97, v19
	v_cndmask_b32_e32 v96, v46, v96, vcc_lo
	v_and_b32_e32 v97, 3, v97
	v_lshl_add_u32 v96, v96, 23, 0x37800000
	v_cndmask_b32_e32 v20, v20, v97, vcc_lo
	v_and_b32_e32 v97, 0x80000000, v47
	v_lshlrev_b32_e32 v20, 21, v20
	v_or3_b32 v20, v97, v96, v20
.LBB4_685:                              ;   in Loop: Header=BB4_504 Depth=2
	s_or_b32 exec_lo, exec_lo, s24
	v_cmp_gt_i16_sdwa s24, v82, v119 src0_sel:BYTE_0 src1_sel:DWORD
	s_mov_b32 s23, 0
	s_and_saveexec_b32 s25, s24
	s_xor_b32 s24, exec_lo, s25
	s_cbranch_execz .LBB4_864
; %bb.686:                              ;   in Loop: Header=BB4_504 Depth=2
	v_cmp_eq_u16_sdwa s26, v82, v40 src0_sel:BYTE_0 src1_sel:DWORD
	s_mov_b32 s23, -1
	s_and_saveexec_b32 s25, s26
; %bb.687:                              ;   in Loop: Header=BB4_504 Depth=2
	s_xor_b32 s23, exec_lo, -1
; %bb.688:                              ;   in Loop: Header=BB4_504 Depth=2
	s_or_b32 exec_lo, exec_lo, s25
	s_and_b32 s23, s23, exec_lo
	s_or_saveexec_b32 s24, s24
	v_mov_b32_e32 v96, 0x7f800001
	s_xor_b32 exec_lo, exec_lo, s24
	s_cbranch_execnz .LBB4_865
.LBB4_689:                              ;   in Loop: Header=BB4_504 Depth=2
	s_or_b32 exec_lo, exec_lo, s24
	s_and_saveexec_b32 s24, s23
	s_cbranch_execz .LBB4_691
.LBB4_690:                              ;   in Loop: Header=BB4_504 Depth=2
	v_and_b32_e32 v96, 3, v82
	v_bfe_u32 v47, v82, 2, 5
	v_lshlrev_b32_e32 v56, 24, v82
	v_ffbh_u32_e32 v97, v96
	v_cmp_eq_u32_e32 vcc_lo, 0, v47
	v_min_u32_e32 v97, 32, v97
	v_subrev_nc_u32_e32 v46, 29, v97
	v_sub_nc_u32_e32 v97, 30, v97
	v_lshlrev_b32_e32 v46, v46, v82
	v_cndmask_b32_e32 v97, v47, v97, vcc_lo
	v_and_b32_e32 v46, 3, v46
	v_lshl_add_u32 v97, v97, 23, 0x37800000
	v_cndmask_b32_e32 v96, v96, v46, vcc_lo
	v_and_b32_e32 v46, 0x80000000, v56
	v_lshlrev_b32_e32 v96, 21, v96
	v_or3_b32 v96, v46, v97, v96
.LBB4_691:                              ;   in Loop: Header=BB4_504 Depth=2
	s_or_b32 exec_lo, exec_lo, s24
	v_max_f32_e32 v96, v96, v96
	v_max_f32_e32 v20, v20, v20
	v_min_f32_e32 v20, v20, v96
.LBB4_692:                              ;   in Loop: Header=BB4_504 Depth=2
	s_or_b32 exec_lo, exec_lo, s11
	v_and_b32_e32 v96, 0x7f800000, v20
	v_cmp_ne_u32_e32 vcc_lo, 0x7f800000, v96
	v_mov_b32_e32 v96, 0x80
	s_and_saveexec_b32 s23, vcc_lo
	s_cbranch_execz .LBB4_700
; %bb.693:                              ;   in Loop: Header=BB4_504 Depth=2
	v_mov_b32_e32 v96, 0
	s_mov_b32 s24, exec_lo
	v_cmpx_ne_u32_e32 0, v20
	s_cbranch_execz .LBB4_699
; %bb.694:                              ;   in Loop: Header=BB4_504 Depth=2
	v_bfe_u32 v96, v20, 23, 8
	v_and_b32_e32 v97, 0x7fffff, v20
	v_sub_nc_u32_e32 v46, 0x70, v96
	v_cmp_gt_u32_e32 vcc_lo, 0x71, v96
	v_or_b32_e32 v47, 0x800000, v97
	v_cndmask_b32_e32 v46, 0, v46, vcc_lo
	v_cmp_eq_u32_e32 vcc_lo, 0, v96
	v_add_nc_u32_e32 v96, 0xffffff91, v96
	v_cndmask_b32_e64 v46, v46, 0x6f, vcc_lo
	v_cndmask_b32_e32 v97, v47, v97, vcc_lo
	v_cndmask_b32_e64 v96, v96, 0xffffff92, vcc_lo
	v_lshl_add_u32 v47, 0x200000, v46, -1
	v_lshrrev_b32_e32 v56, v46, v97
	v_lshlrev_b32_e64 v58, v46, 0x100000
	v_add_nc_u32_e32 v46, v46, v96
	v_and_b32_e32 v97, v47, v97
	v_bfe_u32 v57, v56, 21, 1
	v_cmp_eq_u32_e64 s11, v97, v58
	v_add_nc_u32_e32 v47, -1, v57
	v_cndmask_b32_e64 v97, 0, v47, s11
	v_lshrrev_b32_e32 v47, 23, v56
	s_mov_b32 s11, exec_lo
	v_add_nc_u32_e32 v97, v97, v56
	v_xor_b32_e32 v47, 1, v47
	v_and_b32_e32 v96, 0x1fffff, v97
	v_add_nc_u32_e32 v97, v96, v56
                                        ; implicit-def: $vgpr96
	v_cmpx_ne_u32_e64 v46, v47
	s_xor_b32 s11, exec_lo, s11
; %bb.695:                              ;   in Loop: Header=BB4_504 Depth=2
	v_cmp_lt_u32_e32 vcc_lo, 0xffffff, v97
	v_sub_nc_u32_e32 v96, v46, v47
	v_cndmask_b32_e64 v46, 0, 1, vcc_lo
	v_add_co_ci_u32_e64 v96, null, 0, v96, vcc_lo
	v_lshrrev_b32_e32 v97, v46, v97
; %bb.696:                              ;   in Loop: Header=BB4_504 Depth=2
	s_andn2_saveexec_b32 s11, s11
; %bb.697:                              ;   in Loop: Header=BB4_504 Depth=2
	v_bfe_u32 v96, v97, 23, 1
; %bb.698:                              ;   in Loop: Header=BB4_504 Depth=2
	s_or_b32 exec_lo, exec_lo, s11
	v_lshrrev_b32_e32 v97, 21, v97
	v_min_i32_e32 v46, 31, v96
	v_cmp_gt_i32_e32 vcc_lo, 32, v96
	v_and_b32_sdwa v20, v20, v40 dst_sel:DWORD dst_unused:UNUSED_PAD src0_sel:BYTE_3 src1_sel:DWORD
	v_lshlrev_b32_e32 v46, 2, v46
	v_cndmask_b32_e32 v97, 3, v97, vcc_lo
	v_and_b32_e32 v46, 0xfc, v46
	v_and_b32_e32 v47, 3, v97
	v_or_b32_e32 v96, v96, v97
	v_or3_b32 v20, v46, v20, v47
	v_cmp_ne_u32_e32 vcc_lo, 0, v96
	v_cndmask_b32_e32 v96, 0, v20, vcc_lo
.LBB4_699:                              ;   in Loop: Header=BB4_504 Depth=2
	s_or_b32 exec_lo, exec_lo, s24
.LBB4_700:                              ;   in Loop: Header=BB4_504 Depth=2
	s_or_b32 exec_lo, exec_lo, s23
                                        ; implicit-def: $vgpr20
	s_and_saveexec_b32 s11, s9
	s_xor_b32 s11, exec_lo, s11
	s_cbranch_execz .LBB4_714
; %bb.701:                              ;   in Loop: Header=BB4_504 Depth=2
	v_cmp_gt_i16_sdwa s24, v19, v119 src0_sel:BYTE_1 src1_sel:DWORD
	s_mov_b32 s23, 0
	s_and_saveexec_b32 s25, s24
	s_xor_b32 s24, exec_lo, s25
	s_cbranch_execz .LBB4_866
; %bb.702:                              ;   in Loop: Header=BB4_504 Depth=2
	v_cmp_eq_u16_sdwa s26, v19, v40 src0_sel:BYTE_1 src1_sel:DWORD
	s_mov_b32 s23, -1
	s_and_saveexec_b32 s25, s26
; %bb.703:                              ;   in Loop: Header=BB4_504 Depth=2
	s_xor_b32 s23, exec_lo, -1
; %bb.704:                              ;   in Loop: Header=BB4_504 Depth=2
	s_or_b32 exec_lo, exec_lo, s25
	s_and_b32 s23, s23, exec_lo
	s_or_saveexec_b32 s24, s24
	v_mov_b32_e32 v20, 0x7f800001
	s_xor_b32 exec_lo, exec_lo, s24
	s_cbranch_execnz .LBB4_867
.LBB4_705:                              ;   in Loop: Header=BB4_504 Depth=2
	s_or_b32 exec_lo, exec_lo, s24
	s_and_saveexec_b32 s24, s23
	s_cbranch_execz .LBB4_707
.LBB4_706:                              ;   in Loop: Header=BB4_504 Depth=2
	v_and_b32_sdwa v20, v41, v19 dst_sel:DWORD dst_unused:UNUSED_PAD src0_sel:DWORD src1_sel:BYTE_1
	v_and_b32_e32 v97, 3, v20
	v_bfe_u32 v56, v20, 2, 5
	v_ffbh_u32_e32 v46, v97
	v_cmp_eq_u32_e32 vcc_lo, 0, v56
	v_min_u32_e32 v46, 32, v46
	v_subrev_nc_u32_e32 v47, 29, v46
	v_sub_nc_u32_e32 v46, 30, v46
	v_lshlrev_b32_e32 v20, v47, v20
	v_lshlrev_b32_e32 v47, 16, v19
	v_cndmask_b32_e32 v46, v56, v46, vcc_lo
	v_and_b32_e32 v20, 3, v20
	v_lshl_add_u32 v46, v46, 23, 0x37800000
	v_cndmask_b32_e32 v20, v97, v20, vcc_lo
	v_and_b32_e32 v97, 0x80000000, v47
	v_lshlrev_b32_e32 v20, 21, v20
	v_or3_b32 v20, v97, v46, v20
.LBB4_707:                              ;   in Loop: Header=BB4_504 Depth=2
	s_or_b32 exec_lo, exec_lo, s24
	v_cmp_gt_i16_sdwa s24, v82, v119 src0_sel:BYTE_1 src1_sel:DWORD
	s_mov_b32 s23, 0
	s_and_saveexec_b32 s25, s24
	s_xor_b32 s24, exec_lo, s25
	s_cbranch_execz .LBB4_868
; %bb.708:                              ;   in Loop: Header=BB4_504 Depth=2
	v_cmp_eq_u16_sdwa s26, v82, v40 src0_sel:BYTE_1 src1_sel:DWORD
	s_mov_b32 s23, -1
	s_and_saveexec_b32 s25, s26
; %bb.709:                              ;   in Loop: Header=BB4_504 Depth=2
	s_xor_b32 s23, exec_lo, -1
; %bb.710:                              ;   in Loop: Header=BB4_504 Depth=2
	s_or_b32 exec_lo, exec_lo, s25
	s_and_b32 s23, s23, exec_lo
	s_or_saveexec_b32 s24, s24
	v_mov_b32_e32 v97, 0x7f800001
	s_xor_b32 exec_lo, exec_lo, s24
	s_cbranch_execnz .LBB4_869
.LBB4_711:                              ;   in Loop: Header=BB4_504 Depth=2
	s_or_b32 exec_lo, exec_lo, s24
	s_and_saveexec_b32 s24, s23
	s_cbranch_execz .LBB4_713
.LBB4_712:                              ;   in Loop: Header=BB4_504 Depth=2
	v_and_b32_sdwa v97, v41, v82 dst_sel:DWORD dst_unused:UNUSED_PAD src0_sel:DWORD src1_sel:BYTE_1
	v_and_b32_e32 v46, 3, v97
	v_bfe_u32 v57, v97, 2, 5
	v_ffbh_u32_e32 v47, v46
	v_cmp_eq_u32_e32 vcc_lo, 0, v57
	v_min_u32_e32 v47, 32, v47
	v_subrev_nc_u32_e32 v56, 29, v47
	v_sub_nc_u32_e32 v47, 30, v47
	v_lshlrev_b32_e32 v97, v56, v97
	v_lshlrev_b32_e32 v56, 16, v82
	v_cndmask_b32_e32 v47, v57, v47, vcc_lo
	v_and_b32_e32 v97, 3, v97
	v_lshl_add_u32 v47, v47, 23, 0x37800000
	v_cndmask_b32_e32 v97, v46, v97, vcc_lo
	v_and_b32_e32 v46, 0x80000000, v56
	v_lshlrev_b32_e32 v97, 21, v97
	v_or3_b32 v97, v46, v47, v97
.LBB4_713:                              ;   in Loop: Header=BB4_504 Depth=2
	s_or_b32 exec_lo, exec_lo, s24
	v_max_f32_e32 v97, v97, v97
	v_max_f32_e32 v20, v20, v20
	;; [unrolled: 1-line block ×3, first 2 shown]
	s_andn2_saveexec_b32 s11, s11
	s_cbranch_execz .LBB4_728
	s_branch .LBB4_715
.LBB4_714:                              ;   in Loop: Header=BB4_504 Depth=2
	s_andn2_saveexec_b32 s11, s11
	s_cbranch_execz .LBB4_728
.LBB4_715:                              ;   in Loop: Header=BB4_504 Depth=2
	v_cmp_gt_i16_sdwa s24, v19, v119 src0_sel:BYTE_1 src1_sel:DWORD
	s_mov_b32 s23, 0
	s_and_saveexec_b32 s25, s24
	s_xor_b32 s24, exec_lo, s25
	s_cbranch_execz .LBB4_870
; %bb.716:                              ;   in Loop: Header=BB4_504 Depth=2
	v_cmp_eq_u16_sdwa s26, v19, v40 src0_sel:BYTE_1 src1_sel:DWORD
	s_mov_b32 s23, -1
	s_and_saveexec_b32 s25, s26
; %bb.717:                              ;   in Loop: Header=BB4_504 Depth=2
	s_xor_b32 s23, exec_lo, -1
; %bb.718:                              ;   in Loop: Header=BB4_504 Depth=2
	s_or_b32 exec_lo, exec_lo, s25
	s_and_b32 s23, s23, exec_lo
	s_or_saveexec_b32 s24, s24
	v_mov_b32_e32 v20, 0x7f800001
	s_xor_b32 exec_lo, exec_lo, s24
	s_cbranch_execnz .LBB4_871
.LBB4_719:                              ;   in Loop: Header=BB4_504 Depth=2
	s_or_b32 exec_lo, exec_lo, s24
	s_and_saveexec_b32 s24, s23
	s_cbranch_execz .LBB4_721
.LBB4_720:                              ;   in Loop: Header=BB4_504 Depth=2
	v_and_b32_sdwa v20, v41, v19 dst_sel:DWORD dst_unused:UNUSED_PAD src0_sel:DWORD src1_sel:BYTE_1
	v_and_b32_e32 v97, 3, v20
	v_bfe_u32 v56, v20, 2, 5
	v_ffbh_u32_e32 v46, v97
	v_cmp_eq_u32_e32 vcc_lo, 0, v56
	v_min_u32_e32 v46, 32, v46
	v_subrev_nc_u32_e32 v47, 29, v46
	v_sub_nc_u32_e32 v46, 30, v46
	v_lshlrev_b32_e32 v20, v47, v20
	v_lshlrev_b32_e32 v47, 16, v19
	v_cndmask_b32_e32 v46, v56, v46, vcc_lo
	v_and_b32_e32 v20, 3, v20
	v_lshl_add_u32 v46, v46, 23, 0x37800000
	v_cndmask_b32_e32 v20, v97, v20, vcc_lo
	v_and_b32_e32 v97, 0x80000000, v47
	v_lshlrev_b32_e32 v20, 21, v20
	v_or3_b32 v20, v97, v46, v20
.LBB4_721:                              ;   in Loop: Header=BB4_504 Depth=2
	s_or_b32 exec_lo, exec_lo, s24
	v_cmp_gt_i16_sdwa s24, v82, v119 src0_sel:BYTE_1 src1_sel:DWORD
	s_mov_b32 s23, 0
	s_and_saveexec_b32 s25, s24
	s_xor_b32 s24, exec_lo, s25
	s_cbranch_execz .LBB4_872
; %bb.722:                              ;   in Loop: Header=BB4_504 Depth=2
	v_cmp_eq_u16_sdwa s26, v82, v40 src0_sel:BYTE_1 src1_sel:DWORD
	s_mov_b32 s23, -1
	s_and_saveexec_b32 s25, s26
; %bb.723:                              ;   in Loop: Header=BB4_504 Depth=2
	s_xor_b32 s23, exec_lo, -1
; %bb.724:                              ;   in Loop: Header=BB4_504 Depth=2
	s_or_b32 exec_lo, exec_lo, s25
	s_and_b32 s23, s23, exec_lo
	s_or_saveexec_b32 s24, s24
	v_mov_b32_e32 v97, 0x7f800001
	s_xor_b32 exec_lo, exec_lo, s24
	s_cbranch_execnz .LBB4_873
.LBB4_725:                              ;   in Loop: Header=BB4_504 Depth=2
	s_or_b32 exec_lo, exec_lo, s24
	s_and_saveexec_b32 s24, s23
	s_cbranch_execz .LBB4_727
.LBB4_726:                              ;   in Loop: Header=BB4_504 Depth=2
	v_and_b32_sdwa v97, v41, v82 dst_sel:DWORD dst_unused:UNUSED_PAD src0_sel:DWORD src1_sel:BYTE_1
	v_and_b32_e32 v46, 3, v97
	v_bfe_u32 v57, v97, 2, 5
	v_ffbh_u32_e32 v47, v46
	v_cmp_eq_u32_e32 vcc_lo, 0, v57
	v_min_u32_e32 v47, 32, v47
	v_subrev_nc_u32_e32 v56, 29, v47
	v_sub_nc_u32_e32 v47, 30, v47
	v_lshlrev_b32_e32 v97, v56, v97
	v_lshlrev_b32_e32 v56, 16, v82
	v_cndmask_b32_e32 v47, v57, v47, vcc_lo
	v_and_b32_e32 v97, 3, v97
	v_lshl_add_u32 v47, v47, 23, 0x37800000
	v_cndmask_b32_e32 v97, v46, v97, vcc_lo
	v_and_b32_e32 v46, 0x80000000, v56
	v_lshlrev_b32_e32 v97, 21, v97
	v_or3_b32 v97, v46, v47, v97
.LBB4_727:                              ;   in Loop: Header=BB4_504 Depth=2
	s_or_b32 exec_lo, exec_lo, s24
	v_max_f32_e32 v97, v97, v97
	v_max_f32_e32 v20, v20, v20
	v_min_f32_e32 v20, v20, v97
.LBB4_728:                              ;   in Loop: Header=BB4_504 Depth=2
	s_or_b32 exec_lo, exec_lo, s11
	v_and_b32_e32 v97, 0x7f800000, v20
	v_cmp_ne_u32_e32 vcc_lo, 0x7f800000, v97
	v_mov_b32_e32 v97, 0x8000
	s_and_saveexec_b32 s23, vcc_lo
	s_cbranch_execz .LBB4_736
; %bb.729:                              ;   in Loop: Header=BB4_504 Depth=2
	v_mov_b32_e32 v97, 0
	s_mov_b32 s24, exec_lo
	v_cmpx_ne_u32_e32 0, v20
	s_cbranch_execz .LBB4_735
; %bb.730:                              ;   in Loop: Header=BB4_504 Depth=2
	v_bfe_u32 v97, v20, 23, 8
	v_and_b32_e32 v46, 0x7fffff, v20
	v_sub_nc_u32_e32 v47, 0x70, v97
	v_cmp_gt_u32_e32 vcc_lo, 0x71, v97
	v_or_b32_e32 v56, 0x800000, v46
	v_cndmask_b32_e32 v47, 0, v47, vcc_lo
	v_cmp_eq_u32_e32 vcc_lo, 0, v97
	v_add_nc_u32_e32 v97, 0xffffff91, v97
	v_cndmask_b32_e64 v47, v47, 0x6f, vcc_lo
	v_cndmask_b32_e32 v46, v56, v46, vcc_lo
	v_cndmask_b32_e64 v97, v97, 0xffffff92, vcc_lo
	v_lshl_add_u32 v56, 0x200000, v47, -1
	v_lshrrev_b32_e32 v57, v47, v46
	v_lshlrev_b32_e64 v59, v47, 0x100000
	v_add_nc_u32_e32 v47, v47, v97
	v_and_b32_e32 v46, v56, v46
	v_bfe_u32 v58, v57, 21, 1
	v_cmp_eq_u32_e64 s11, v46, v59
	v_add_nc_u32_e32 v56, -1, v58
	v_cndmask_b32_e64 v46, 0, v56, s11
	v_lshrrev_b32_e32 v56, 23, v57
	s_mov_b32 s11, exec_lo
	v_add_nc_u32_e32 v46, v46, v57
	v_xor_b32_e32 v56, 1, v56
	v_and_b32_e32 v97, 0x1fffff, v46
	v_add_nc_u32_e32 v46, v97, v57
                                        ; implicit-def: $vgpr97
	v_cmpx_ne_u32_e64 v47, v56
	s_xor_b32 s11, exec_lo, s11
; %bb.731:                              ;   in Loop: Header=BB4_504 Depth=2
	v_cmp_lt_u32_e32 vcc_lo, 0xffffff, v46
	v_sub_nc_u32_e32 v97, v47, v56
	v_cndmask_b32_e64 v47, 0, 1, vcc_lo
	v_add_co_ci_u32_e64 v97, null, 0, v97, vcc_lo
	v_lshrrev_b32_e32 v46, v47, v46
; %bb.732:                              ;   in Loop: Header=BB4_504 Depth=2
	s_andn2_saveexec_b32 s11, s11
; %bb.733:                              ;   in Loop: Header=BB4_504 Depth=2
	v_bfe_u32 v97, v46, 23, 1
; %bb.734:                              ;   in Loop: Header=BB4_504 Depth=2
	s_or_b32 exec_lo, exec_lo, s11
	v_lshrrev_b32_e32 v46, 21, v46
	v_min_i32_e32 v47, 31, v97
	v_cmp_gt_i32_e32 vcc_lo, 32, v97
	v_and_b32_sdwa v20, v20, v40 dst_sel:DWORD dst_unused:UNUSED_PAD src0_sel:BYTE_3 src1_sel:DWORD
	v_lshlrev_b32_e32 v47, 2, v47
	v_cndmask_b32_e32 v46, 3, v46, vcc_lo
	v_and_b32_e32 v47, 0xfc, v47
	v_and_b32_e32 v56, 3, v46
	v_or_b32_e32 v97, v97, v46
	v_or3_b32 v20, v20, v47, v56
	v_cmp_ne_u32_e32 vcc_lo, 0, v97
	v_lshlrev_b32_e32 v20, 8, v20
	v_cndmask_b32_e32 v97, 0, v20, vcc_lo
.LBB4_735:                              ;   in Loop: Header=BB4_504 Depth=2
	s_or_b32 exec_lo, exec_lo, s24
.LBB4_736:                              ;   in Loop: Header=BB4_504 Depth=2
	s_or_b32 exec_lo, exec_lo, s23
                                        ; implicit-def: $vgpr20
	s_and_saveexec_b32 s11, s9
	s_xor_b32 s11, exec_lo, s11
	s_cbranch_execz .LBB4_750
; %bb.737:                              ;   in Loop: Header=BB4_504 Depth=2
	v_and_b32_sdwa v46, v19, v42 dst_sel:DWORD dst_unused:UNUSED_PAD src0_sel:WORD_1 src1_sel:DWORD
	s_mov_b32 s23, 0
	s_mov_b32 s24, exec_lo
	v_cmpx_lt_i16_e32 0x7f, v46
	s_xor_b32 s24, exec_lo, s24
	s_cbranch_execz .LBB4_874
; %bb.738:                              ;   in Loop: Header=BB4_504 Depth=2
	s_mov_b32 s23, -1
	s_mov_b32 s25, exec_lo
	v_cmpx_eq_u16_e32 0x80, v46
; %bb.739:                              ;   in Loop: Header=BB4_504 Depth=2
	s_xor_b32 s23, exec_lo, -1
; %bb.740:                              ;   in Loop: Header=BB4_504 Depth=2
	s_or_b32 exec_lo, exec_lo, s25
	s_and_b32 s23, s23, exec_lo
                                        ; implicit-def: $vgpr46
	s_or_saveexec_b32 s24, s24
	v_mov_b32_e32 v20, 0x7f800001
	s_xor_b32 exec_lo, exec_lo, s24
	s_cbranch_execnz .LBB4_875
.LBB4_741:                              ;   in Loop: Header=BB4_504 Depth=2
	s_or_b32 exec_lo, exec_lo, s24
	s_and_saveexec_b32 s24, s23
	s_cbranch_execz .LBB4_743
.LBB4_742:                              ;   in Loop: Header=BB4_504 Depth=2
	v_bfe_u32 v20, v19, 16, 2
	v_bfe_u32 v56, v19, 18, 5
	v_lshlrev_b32_sdwa v57, v43, v19 dst_sel:DWORD dst_unused:UNUSED_PAD src0_sel:DWORD src1_sel:WORD_1
	v_ffbh_u32_e32 v46, v20
	v_cmp_eq_u32_e32 vcc_lo, 0, v56
	v_min_u32_e32 v46, 32, v46
	v_subrev_nc_u32_e32 v47, 29, v46
	v_sub_nc_u32_e32 v46, 30, v46
	v_lshlrev_b32_sdwa v47, v47, v19 dst_sel:DWORD dst_unused:UNUSED_PAD src0_sel:DWORD src1_sel:WORD_1
	v_cndmask_b32_e32 v46, v56, v46, vcc_lo
	v_and_b32_e32 v47, 3, v47
	v_lshl_add_u32 v46, v46, 23, 0x37800000
	v_cndmask_b32_e32 v20, v20, v47, vcc_lo
	v_and_b32_e32 v47, 0x80000000, v57
	v_lshlrev_b32_e32 v20, 21, v20
	v_or3_b32 v20, v47, v46, v20
.LBB4_743:                              ;   in Loop: Header=BB4_504 Depth=2
	s_or_b32 exec_lo, exec_lo, s24
	v_and_b32_sdwa v47, v82, v42 dst_sel:DWORD dst_unused:UNUSED_PAD src0_sel:WORD_1 src1_sel:DWORD
	s_mov_b32 s23, 0
	s_mov_b32 s24, exec_lo
	v_cmpx_lt_i16_e32 0x7f, v47
	s_xor_b32 s24, exec_lo, s24
	s_cbranch_execz .LBB4_876
; %bb.744:                              ;   in Loop: Header=BB4_504 Depth=2
	s_mov_b32 s23, -1
	s_mov_b32 s25, exec_lo
	v_cmpx_eq_u16_e32 0x80, v47
; %bb.745:                              ;   in Loop: Header=BB4_504 Depth=2
	s_xor_b32 s23, exec_lo, -1
; %bb.746:                              ;   in Loop: Header=BB4_504 Depth=2
	s_or_b32 exec_lo, exec_lo, s25
	s_and_b32 s23, s23, exec_lo
                                        ; implicit-def: $vgpr47
	s_or_saveexec_b32 s24, s24
	v_mov_b32_e32 v46, 0x7f800001
	s_xor_b32 exec_lo, exec_lo, s24
	s_cbranch_execnz .LBB4_877
.LBB4_747:                              ;   in Loop: Header=BB4_504 Depth=2
	s_or_b32 exec_lo, exec_lo, s24
	s_and_saveexec_b32 s24, s23
	s_cbranch_execz .LBB4_749
.LBB4_748:                              ;   in Loop: Header=BB4_504 Depth=2
	v_bfe_u32 v46, v82, 16, 2
	v_bfe_u32 v57, v82, 18, 5
	v_lshlrev_b32_sdwa v58, v43, v82 dst_sel:DWORD dst_unused:UNUSED_PAD src0_sel:DWORD src1_sel:WORD_1
	v_ffbh_u32_e32 v47, v46
	v_cmp_eq_u32_e32 vcc_lo, 0, v57
	v_min_u32_e32 v47, 32, v47
	v_subrev_nc_u32_e32 v56, 29, v47
	v_sub_nc_u32_e32 v47, 30, v47
	v_lshlrev_b32_sdwa v56, v56, v82 dst_sel:DWORD dst_unused:UNUSED_PAD src0_sel:DWORD src1_sel:WORD_1
	v_cndmask_b32_e32 v47, v57, v47, vcc_lo
	v_and_b32_e32 v56, 3, v56
	v_lshl_add_u32 v47, v47, 23, 0x37800000
	v_cndmask_b32_e32 v46, v46, v56, vcc_lo
	v_and_b32_e32 v56, 0x80000000, v58
	v_lshlrev_b32_e32 v46, 21, v46
	v_or3_b32 v46, v56, v47, v46
.LBB4_749:                              ;   in Loop: Header=BB4_504 Depth=2
	s_or_b32 exec_lo, exec_lo, s24
	v_max_f32_e32 v46, v46, v46
	v_max_f32_e32 v20, v20, v20
	;; [unrolled: 1-line block ×3, first 2 shown]
	s_andn2_saveexec_b32 s11, s11
	s_cbranch_execz .LBB4_764
	s_branch .LBB4_751
.LBB4_750:                              ;   in Loop: Header=BB4_504 Depth=2
	s_andn2_saveexec_b32 s11, s11
	s_cbranch_execz .LBB4_764
.LBB4_751:                              ;   in Loop: Header=BB4_504 Depth=2
	v_and_b32_sdwa v46, v19, v42 dst_sel:DWORD dst_unused:UNUSED_PAD src0_sel:WORD_1 src1_sel:DWORD
	s_mov_b32 s23, 0
	s_mov_b32 s24, exec_lo
	v_cmpx_lt_i16_e32 0x7f, v46
	s_xor_b32 s24, exec_lo, s24
	s_cbranch_execz .LBB4_878
; %bb.752:                              ;   in Loop: Header=BB4_504 Depth=2
	s_mov_b32 s23, -1
	s_mov_b32 s25, exec_lo
	v_cmpx_eq_u16_e32 0x80, v46
; %bb.753:                              ;   in Loop: Header=BB4_504 Depth=2
	s_xor_b32 s23, exec_lo, -1
; %bb.754:                              ;   in Loop: Header=BB4_504 Depth=2
	s_or_b32 exec_lo, exec_lo, s25
	s_and_b32 s23, s23, exec_lo
                                        ; implicit-def: $vgpr46
	s_or_saveexec_b32 s24, s24
	v_mov_b32_e32 v20, 0x7f800001
	s_xor_b32 exec_lo, exec_lo, s24
	s_cbranch_execnz .LBB4_879
.LBB4_755:                              ;   in Loop: Header=BB4_504 Depth=2
	s_or_b32 exec_lo, exec_lo, s24
	s_and_saveexec_b32 s24, s23
	s_cbranch_execz .LBB4_757
.LBB4_756:                              ;   in Loop: Header=BB4_504 Depth=2
	v_bfe_u32 v20, v19, 16, 2
	v_bfe_u32 v56, v19, 18, 5
	v_lshlrev_b32_sdwa v57, v43, v19 dst_sel:DWORD dst_unused:UNUSED_PAD src0_sel:DWORD src1_sel:WORD_1
	v_ffbh_u32_e32 v46, v20
	v_cmp_eq_u32_e32 vcc_lo, 0, v56
	v_min_u32_e32 v46, 32, v46
	v_subrev_nc_u32_e32 v47, 29, v46
	v_sub_nc_u32_e32 v46, 30, v46
	v_lshlrev_b32_sdwa v47, v47, v19 dst_sel:DWORD dst_unused:UNUSED_PAD src0_sel:DWORD src1_sel:WORD_1
	v_cndmask_b32_e32 v46, v56, v46, vcc_lo
	v_and_b32_e32 v47, 3, v47
	v_lshl_add_u32 v46, v46, 23, 0x37800000
	v_cndmask_b32_e32 v20, v20, v47, vcc_lo
	v_and_b32_e32 v47, 0x80000000, v57
	v_lshlrev_b32_e32 v20, 21, v20
	v_or3_b32 v20, v47, v46, v20
.LBB4_757:                              ;   in Loop: Header=BB4_504 Depth=2
	s_or_b32 exec_lo, exec_lo, s24
	v_and_b32_sdwa v47, v82, v42 dst_sel:DWORD dst_unused:UNUSED_PAD src0_sel:WORD_1 src1_sel:DWORD
	s_mov_b32 s23, 0
	s_mov_b32 s24, exec_lo
	v_cmpx_lt_i16_e32 0x7f, v47
	s_xor_b32 s24, exec_lo, s24
	s_cbranch_execz .LBB4_880
; %bb.758:                              ;   in Loop: Header=BB4_504 Depth=2
	s_mov_b32 s23, -1
	s_mov_b32 s25, exec_lo
	v_cmpx_eq_u16_e32 0x80, v47
; %bb.759:                              ;   in Loop: Header=BB4_504 Depth=2
	s_xor_b32 s23, exec_lo, -1
; %bb.760:                              ;   in Loop: Header=BB4_504 Depth=2
	s_or_b32 exec_lo, exec_lo, s25
	s_and_b32 s23, s23, exec_lo
                                        ; implicit-def: $vgpr47
	s_or_saveexec_b32 s24, s24
	v_mov_b32_e32 v46, 0x7f800001
	s_xor_b32 exec_lo, exec_lo, s24
	s_cbranch_execnz .LBB4_881
.LBB4_761:                              ;   in Loop: Header=BB4_504 Depth=2
	s_or_b32 exec_lo, exec_lo, s24
	s_and_saveexec_b32 s24, s23
	s_cbranch_execz .LBB4_763
.LBB4_762:                              ;   in Loop: Header=BB4_504 Depth=2
	v_bfe_u32 v46, v82, 16, 2
	v_bfe_u32 v57, v82, 18, 5
	v_lshlrev_b32_sdwa v58, v43, v82 dst_sel:DWORD dst_unused:UNUSED_PAD src0_sel:DWORD src1_sel:WORD_1
	v_ffbh_u32_e32 v47, v46
	v_cmp_eq_u32_e32 vcc_lo, 0, v57
	v_min_u32_e32 v47, 32, v47
	v_subrev_nc_u32_e32 v56, 29, v47
	v_sub_nc_u32_e32 v47, 30, v47
	v_lshlrev_b32_sdwa v56, v56, v82 dst_sel:DWORD dst_unused:UNUSED_PAD src0_sel:DWORD src1_sel:WORD_1
	v_cndmask_b32_e32 v47, v57, v47, vcc_lo
	v_and_b32_e32 v56, 3, v56
	v_lshl_add_u32 v47, v47, 23, 0x37800000
	v_cndmask_b32_e32 v46, v46, v56, vcc_lo
	v_and_b32_e32 v56, 0x80000000, v58
	v_lshlrev_b32_e32 v46, 21, v46
	v_or3_b32 v46, v56, v47, v46
.LBB4_763:                              ;   in Loop: Header=BB4_504 Depth=2
	s_or_b32 exec_lo, exec_lo, s24
	v_max_f32_e32 v46, v46, v46
	v_max_f32_e32 v20, v20, v20
	v_min_f32_e32 v20, v20, v46
.LBB4_764:                              ;   in Loop: Header=BB4_504 Depth=2
	s_or_b32 exec_lo, exec_lo, s11
	v_and_b32_e32 v46, 0x7f800000, v20
	v_cmp_ne_u32_e32 vcc_lo, 0x7f800000, v46
	v_mov_b32_e32 v46, 0x80
	s_and_saveexec_b32 s23, vcc_lo
	s_cbranch_execz .LBB4_772
; %bb.765:                              ;   in Loop: Header=BB4_504 Depth=2
	v_mov_b32_e32 v46, 0
	s_mov_b32 s24, exec_lo
	v_cmpx_ne_u32_e32 0, v20
	s_cbranch_execz .LBB4_771
; %bb.766:                              ;   in Loop: Header=BB4_504 Depth=2
	v_bfe_u32 v46, v20, 23, 8
	v_and_b32_e32 v47, 0x7fffff, v20
	v_sub_nc_u32_e32 v56, 0x70, v46
	v_cmp_gt_u32_e32 vcc_lo, 0x71, v46
	v_or_b32_e32 v57, 0x800000, v47
	v_cndmask_b32_e32 v56, 0, v56, vcc_lo
	v_cmp_eq_u32_e32 vcc_lo, 0, v46
	v_add_nc_u32_e32 v46, 0xffffff91, v46
	v_cndmask_b32_e64 v56, v56, 0x6f, vcc_lo
	v_cndmask_b32_e32 v47, v57, v47, vcc_lo
	v_cndmask_b32_e64 v46, v46, 0xffffff92, vcc_lo
	v_lshl_add_u32 v57, 0x200000, v56, -1
	v_lshrrev_b32_e32 v58, v56, v47
	v_lshlrev_b32_e64 v60, v56, 0x100000
	v_add_nc_u32_e32 v56, v56, v46
	v_and_b32_e32 v47, v57, v47
	v_bfe_u32 v59, v58, 21, 1
	v_cmp_eq_u32_e64 s11, v47, v60
	v_add_nc_u32_e32 v57, -1, v59
	v_cndmask_b32_e64 v47, 0, v57, s11
	v_lshrrev_b32_e32 v57, 23, v58
	s_mov_b32 s11, exec_lo
	v_add_nc_u32_e32 v47, v47, v58
	v_xor_b32_e32 v57, 1, v57
	v_and_b32_e32 v46, 0x1fffff, v47
	v_add_nc_u32_e32 v47, v46, v58
                                        ; implicit-def: $vgpr46
	v_cmpx_ne_u32_e64 v56, v57
	s_xor_b32 s11, exec_lo, s11
; %bb.767:                              ;   in Loop: Header=BB4_504 Depth=2
	v_cmp_lt_u32_e32 vcc_lo, 0xffffff, v47
	v_sub_nc_u32_e32 v46, v56, v57
	v_cndmask_b32_e64 v56, 0, 1, vcc_lo
	v_add_co_ci_u32_e64 v46, null, 0, v46, vcc_lo
	v_lshrrev_b32_e32 v47, v56, v47
; %bb.768:                              ;   in Loop: Header=BB4_504 Depth=2
	s_andn2_saveexec_b32 s11, s11
; %bb.769:                              ;   in Loop: Header=BB4_504 Depth=2
	v_bfe_u32 v46, v47, 23, 1
; %bb.770:                              ;   in Loop: Header=BB4_504 Depth=2
	s_or_b32 exec_lo, exec_lo, s11
	v_lshrrev_b32_e32 v47, 21, v47
	v_min_i32_e32 v56, 31, v46
	v_cmp_gt_i32_e32 vcc_lo, 32, v46
	v_and_b32_sdwa v20, v20, v40 dst_sel:DWORD dst_unused:UNUSED_PAD src0_sel:BYTE_3 src1_sel:DWORD
	v_lshlrev_b32_e32 v56, 2, v56
	v_cndmask_b32_e32 v47, 3, v47, vcc_lo
	v_and_b32_e32 v56, 0xfc, v56
	v_and_b32_e32 v57, 3, v47
	v_or_b32_e32 v46, v46, v47
	v_or3_b32 v20, v56, v20, v57
	v_cmp_ne_u32_e32 vcc_lo, 0, v46
	v_cndmask_b32_e32 v46, 0, v20, vcc_lo
.LBB4_771:                              ;   in Loop: Header=BB4_504 Depth=2
	s_or_b32 exec_lo, exec_lo, s24
.LBB4_772:                              ;   in Loop: Header=BB4_504 Depth=2
	s_or_b32 exec_lo, exec_lo, s23
                                        ; implicit-def: $vgpr47
	s_and_saveexec_b32 s11, s9
	s_xor_b32 s11, exec_lo, s11
	s_cbranch_execz .LBB4_786
; %bb.773:                              ;   in Loop: Header=BB4_504 Depth=2
	v_cmp_gt_i16_sdwa s24, v19, v119 src0_sel:BYTE_3 src1_sel:DWORD
	s_mov_b32 s23, 0
	s_and_saveexec_b32 s25, s24
	s_xor_b32 s24, exec_lo, s25
	s_cbranch_execz .LBB4_882
; %bb.774:                              ;   in Loop: Header=BB4_504 Depth=2
	v_cmp_eq_u16_sdwa s26, v19, v40 src0_sel:BYTE_3 src1_sel:DWORD
	s_mov_b32 s23, -1
	s_and_saveexec_b32 s25, s26
; %bb.775:                              ;   in Loop: Header=BB4_504 Depth=2
	s_xor_b32 s23, exec_lo, -1
; %bb.776:                              ;   in Loop: Header=BB4_504 Depth=2
	s_or_b32 exec_lo, exec_lo, s25
	s_and_b32 s23, s23, exec_lo
	s_or_saveexec_b32 s24, s24
	v_mov_b32_e32 v20, 0x7f800001
	s_xor_b32 exec_lo, exec_lo, s24
	s_cbranch_execnz .LBB4_883
.LBB4_777:                              ;   in Loop: Header=BB4_504 Depth=2
	s_or_b32 exec_lo, exec_lo, s24
	s_and_saveexec_b32 s24, s23
	s_cbranch_execz .LBB4_779
.LBB4_778:                              ;   in Loop: Header=BB4_504 Depth=2
	v_bfe_u32 v20, v19, 24, 2
	v_bfe_u32 v57, v19, 26, 5
	v_ffbh_u32_e32 v47, v20
	v_cmp_eq_u32_e32 vcc_lo, 0, v57
	v_min_u32_e32 v47, 32, v47
	v_subrev_nc_u32_e32 v56, 29, v47
	v_sub_nc_u32_e32 v47, 30, v47
	v_lshlrev_b32_sdwa v56, v56, v19 dst_sel:DWORD dst_unused:UNUSED_PAD src0_sel:DWORD src1_sel:BYTE_3
	v_cndmask_b32_e32 v47, v57, v47, vcc_lo
	v_and_b32_e32 v19, 0x80000000, v19
	v_and_b32_e32 v56, 3, v56
	v_lshl_add_u32 v47, v47, 23, 0x37800000
	v_cndmask_b32_e32 v20, v20, v56, vcc_lo
	v_lshlrev_b32_e32 v20, 21, v20
	v_or3_b32 v20, v19, v47, v20
.LBB4_779:                              ;   in Loop: Header=BB4_504 Depth=2
	s_or_b32 exec_lo, exec_lo, s24
	v_cmp_gt_i16_sdwa s24, v82, v119 src0_sel:BYTE_3 src1_sel:DWORD
	s_mov_b32 s23, 0
	s_and_saveexec_b32 s25, s24
	s_xor_b32 s24, exec_lo, s25
	s_cbranch_execz .LBB4_884
; %bb.780:                              ;   in Loop: Header=BB4_504 Depth=2
	v_cmp_eq_u16_sdwa s26, v82, v40 src0_sel:BYTE_3 src1_sel:DWORD
	s_mov_b32 s23, -1
	s_and_saveexec_b32 s25, s26
; %bb.781:                              ;   in Loop: Header=BB4_504 Depth=2
	s_xor_b32 s23, exec_lo, -1
; %bb.782:                              ;   in Loop: Header=BB4_504 Depth=2
	s_or_b32 exec_lo, exec_lo, s25
	s_and_b32 s23, s23, exec_lo
	s_or_saveexec_b32 s24, s24
	v_mov_b32_e32 v19, 0x7f800001
	s_xor_b32 exec_lo, exec_lo, s24
	s_cbranch_execnz .LBB4_885
.LBB4_783:                              ;   in Loop: Header=BB4_504 Depth=2
	s_or_b32 exec_lo, exec_lo, s24
	s_and_saveexec_b32 s24, s23
	s_cbranch_execz .LBB4_785
.LBB4_784:                              ;   in Loop: Header=BB4_504 Depth=2
	v_bfe_u32 v19, v82, 24, 2
	v_bfe_u32 v57, v82, 26, 5
	v_ffbh_u32_e32 v47, v19
	v_cmp_eq_u32_e32 vcc_lo, 0, v57
	v_min_u32_e32 v47, 32, v47
	v_subrev_nc_u32_e32 v56, 29, v47
	v_sub_nc_u32_e32 v47, 30, v47
	v_lshlrev_b32_sdwa v56, v56, v82 dst_sel:DWORD dst_unused:UNUSED_PAD src0_sel:DWORD src1_sel:BYTE_3
	v_cndmask_b32_e32 v47, v57, v47, vcc_lo
	v_and_b32_e32 v82, 0x80000000, v82
	v_and_b32_e32 v56, 3, v56
	v_lshl_add_u32 v47, v47, 23, 0x37800000
	v_cndmask_b32_e32 v19, v19, v56, vcc_lo
	v_lshlrev_b32_e32 v19, 21, v19
	v_or3_b32 v19, v82, v47, v19
.LBB4_785:                              ;   in Loop: Header=BB4_504 Depth=2
	s_or_b32 exec_lo, exec_lo, s24
	v_max_f32_e32 v19, v19, v19
	v_max_f32_e32 v20, v20, v20
                                        ; implicit-def: $vgpr82
	v_max_f32_e32 v47, v20, v19
                                        ; implicit-def: $vgpr19_vgpr20
	s_andn2_saveexec_b32 s11, s11
	s_cbranch_execz .LBB4_800
	s_branch .LBB4_787
.LBB4_786:                              ;   in Loop: Header=BB4_504 Depth=2
	s_andn2_saveexec_b32 s11, s11
	s_cbranch_execz .LBB4_800
.LBB4_787:                              ;   in Loop: Header=BB4_504 Depth=2
	v_cmp_gt_i16_sdwa s24, v19, v119 src0_sel:BYTE_3 src1_sel:DWORD
	s_mov_b32 s23, 0
	s_and_saveexec_b32 s25, s24
	s_xor_b32 s24, exec_lo, s25
	s_cbranch_execz .LBB4_886
; %bb.788:                              ;   in Loop: Header=BB4_504 Depth=2
	v_cmp_eq_u16_sdwa s26, v19, v40 src0_sel:BYTE_3 src1_sel:DWORD
	s_mov_b32 s23, -1
	s_and_saveexec_b32 s25, s26
; %bb.789:                              ;   in Loop: Header=BB4_504 Depth=2
	s_xor_b32 s23, exec_lo, -1
; %bb.790:                              ;   in Loop: Header=BB4_504 Depth=2
	s_or_b32 exec_lo, exec_lo, s25
	s_and_b32 s23, s23, exec_lo
	s_or_saveexec_b32 s24, s24
	v_mov_b32_e32 v20, 0x7f800001
	s_xor_b32 exec_lo, exec_lo, s24
	s_cbranch_execnz .LBB4_887
.LBB4_791:                              ;   in Loop: Header=BB4_504 Depth=2
	s_or_b32 exec_lo, exec_lo, s24
	s_and_saveexec_b32 s24, s23
	s_cbranch_execz .LBB4_793
.LBB4_792:                              ;   in Loop: Header=BB4_504 Depth=2
	v_bfe_u32 v20, v19, 24, 2
	v_bfe_u32 v57, v19, 26, 5
	v_ffbh_u32_e32 v47, v20
	v_cmp_eq_u32_e32 vcc_lo, 0, v57
	v_min_u32_e32 v47, 32, v47
	v_subrev_nc_u32_e32 v56, 29, v47
	v_sub_nc_u32_e32 v47, 30, v47
	v_lshlrev_b32_sdwa v56, v56, v19 dst_sel:DWORD dst_unused:UNUSED_PAD src0_sel:DWORD src1_sel:BYTE_3
	v_cndmask_b32_e32 v47, v57, v47, vcc_lo
	v_and_b32_e32 v19, 0x80000000, v19
	v_and_b32_e32 v56, 3, v56
	v_lshl_add_u32 v47, v47, 23, 0x37800000
	v_cndmask_b32_e32 v20, v20, v56, vcc_lo
	v_lshlrev_b32_e32 v20, 21, v20
	v_or3_b32 v20, v19, v47, v20
.LBB4_793:                              ;   in Loop: Header=BB4_504 Depth=2
	s_or_b32 exec_lo, exec_lo, s24
	v_cmp_gt_i16_sdwa s24, v82, v119 src0_sel:BYTE_3 src1_sel:DWORD
	s_mov_b32 s23, 0
	s_and_saveexec_b32 s25, s24
	s_xor_b32 s24, exec_lo, s25
	s_cbranch_execz .LBB4_888
; %bb.794:                              ;   in Loop: Header=BB4_504 Depth=2
	v_cmp_eq_u16_sdwa s26, v82, v40 src0_sel:BYTE_3 src1_sel:DWORD
	s_mov_b32 s23, -1
	s_and_saveexec_b32 s25, s26
; %bb.795:                              ;   in Loop: Header=BB4_504 Depth=2
	s_xor_b32 s23, exec_lo, -1
; %bb.796:                              ;   in Loop: Header=BB4_504 Depth=2
	s_or_b32 exec_lo, exec_lo, s25
	s_and_b32 s23, s23, exec_lo
	s_or_saveexec_b32 s24, s24
	v_mov_b32_e32 v19, 0x7f800001
	s_xor_b32 exec_lo, exec_lo, s24
	s_cbranch_execnz .LBB4_889
.LBB4_797:                              ;   in Loop: Header=BB4_504 Depth=2
	s_or_b32 exec_lo, exec_lo, s24
	s_and_saveexec_b32 s24, s23
	s_cbranch_execz .LBB4_799
.LBB4_798:                              ;   in Loop: Header=BB4_504 Depth=2
	v_bfe_u32 v19, v82, 24, 2
	v_bfe_u32 v57, v82, 26, 5
	v_ffbh_u32_e32 v47, v19
	v_cmp_eq_u32_e32 vcc_lo, 0, v57
	v_min_u32_e32 v47, 32, v47
	v_subrev_nc_u32_e32 v56, 29, v47
	v_sub_nc_u32_e32 v47, 30, v47
	v_lshlrev_b32_sdwa v56, v56, v82 dst_sel:DWORD dst_unused:UNUSED_PAD src0_sel:DWORD src1_sel:BYTE_3
	v_cndmask_b32_e32 v47, v57, v47, vcc_lo
	v_and_b32_e32 v82, 0x80000000, v82
	v_and_b32_e32 v56, 3, v56
	v_lshl_add_u32 v47, v47, 23, 0x37800000
	v_cndmask_b32_e32 v19, v19, v56, vcc_lo
	v_lshlrev_b32_e32 v19, 21, v19
	v_or3_b32 v19, v82, v47, v19
.LBB4_799:                              ;   in Loop: Header=BB4_504 Depth=2
	s_or_b32 exec_lo, exec_lo, s24
	v_max_f32_e32 v19, v19, v19
	v_max_f32_e32 v20, v20, v20
	v_min_f32_e32 v47, v20, v19
.LBB4_800:                              ;   in Loop: Header=BB4_504 Depth=2
	s_or_b32 exec_lo, exec_lo, s11
	v_and_b32_e32 v19, 0x7f800000, v47
	v_mov_b32_e32 v20, 0x8000
	s_mov_b32 s23, exec_lo
	v_cmpx_ne_u32_e32 0x7f800000, v19
	s_cbranch_execz .LBB4_808
; %bb.801:                              ;   in Loop: Header=BB4_504 Depth=2
	v_mov_b32_e32 v20, 0
	s_mov_b32 s24, exec_lo
	v_cmpx_ne_u32_e32 0, v47
	s_cbranch_execz .LBB4_807
; %bb.802:                              ;   in Loop: Header=BB4_504 Depth=2
	v_bfe_u32 v19, v47, 23, 8
	v_and_b32_e32 v20, 0x7fffff, v47
	v_sub_nc_u32_e32 v82, 0x70, v19
	v_cmp_gt_u32_e32 vcc_lo, 0x71, v19
	v_or_b32_e32 v56, 0x800000, v20
	v_cndmask_b32_e32 v82, 0, v82, vcc_lo
	v_cmp_eq_u32_e32 vcc_lo, 0, v19
	v_add_nc_u32_e32 v19, 0xffffff91, v19
	v_cndmask_b32_e64 v82, v82, 0x6f, vcc_lo
	v_cndmask_b32_e32 v20, v56, v20, vcc_lo
	v_cndmask_b32_e64 v19, v19, 0xffffff92, vcc_lo
	v_lshl_add_u32 v56, 0x200000, v82, -1
	v_lshrrev_b32_e32 v57, v82, v20
	v_lshlrev_b32_e64 v59, v82, 0x100000
	v_add_nc_u32_e32 v82, v82, v19
	v_and_b32_e32 v20, v56, v20
	v_bfe_u32 v58, v57, 21, 1
	v_cmp_eq_u32_e64 s11, v20, v59
	v_add_nc_u32_e32 v56, -1, v58
	v_cndmask_b32_e64 v20, 0, v56, s11
	v_lshrrev_b32_e32 v56, 23, v57
	s_mov_b32 s11, exec_lo
	v_add_nc_u32_e32 v20, v20, v57
	v_xor_b32_e32 v56, 1, v56
	v_and_b32_e32 v19, 0x1fffff, v20
	v_add_nc_u32_e32 v20, v19, v57
                                        ; implicit-def: $vgpr19
	v_cmpx_ne_u32_e64 v82, v56
	s_xor_b32 s11, exec_lo, s11
; %bb.803:                              ;   in Loop: Header=BB4_504 Depth=2
	v_cmp_lt_u32_e32 vcc_lo, 0xffffff, v20
	v_sub_nc_u32_e32 v19, v82, v56
	v_cndmask_b32_e64 v82, 0, 1, vcc_lo
	v_add_co_ci_u32_e64 v19, null, 0, v19, vcc_lo
	v_lshrrev_b32_e32 v20, v82, v20
; %bb.804:                              ;   in Loop: Header=BB4_504 Depth=2
	s_andn2_saveexec_b32 s11, s11
; %bb.805:                              ;   in Loop: Header=BB4_504 Depth=2
	v_bfe_u32 v19, v20, 23, 1
; %bb.806:                              ;   in Loop: Header=BB4_504 Depth=2
	s_or_b32 exec_lo, exec_lo, s11
	v_lshrrev_b32_e32 v20, 21, v20
	v_min_i32_e32 v82, 31, v19
	v_cmp_gt_i32_e32 vcc_lo, 32, v19
	v_and_b32_sdwa v47, v47, v40 dst_sel:DWORD dst_unused:UNUSED_PAD src0_sel:BYTE_3 src1_sel:DWORD
	v_lshlrev_b32_e32 v82, 2, v82
	v_cndmask_b32_e32 v20, 3, v20, vcc_lo
	v_and_b32_e32 v82, 0xfc, v82
	v_and_b32_e32 v56, 3, v20
	v_or_b32_e32 v19, v19, v20
	v_or3_b32 v82, v47, v82, v56
	v_cmp_ne_u32_e32 vcc_lo, 0, v19
	v_lshlrev_b32_e32 v20, 8, v82
	v_cndmask_b32_e32 v20, 0, v20, vcc_lo
.LBB4_807:                              ;   in Loop: Header=BB4_504 Depth=2
	s_or_b32 exec_lo, exec_lo, s24
.LBB4_808:                              ;   in Loop: Header=BB4_504 Depth=2
	s_or_b32 exec_lo, exec_lo, s23
	v_or_b32_e32 v52, v52, v18
	v_or_b32_e32 v17, v17, v81
	;; [unrolled: 1-line block ×4, first 2 shown]
	v_cmp_lt_u32_e32 vcc_lo, 7, v45
	s_mov_b32 s11, -1
	v_lshl_or_b32 v17, v17, 16, v52
	v_lshl_or_b32 v18, v18, 16, v19
	s_cmp_lg_u32 vcc_lo, exec_lo
	s_cbranch_scc0 .LBB4_824
; %bb.809:                              ;   in Loop: Header=BB4_504 Depth=2
	s_mov_b32 s23, exec_lo
	flat_store_byte v[70:71], v52
	v_cmpx_ne_u32_e32 1, v45
	s_cbranch_execz .LBB4_811
; %bb.810:                              ;   in Loop: Header=BB4_504 Depth=2
	v_lshrrev_b32_e32 v20, 8, v52
	flat_store_byte v[70:71], v20 offset:1
.LBB4_811:                              ;   in Loop: Header=BB4_504 Depth=2
	s_or_b32 exec_lo, exec_lo, s23
	s_mov_b32 s23, exec_lo
	v_cmpx_lt_u32_e32 2, v45
	s_cbranch_execz .LBB4_813
; %bb.812:                              ;   in Loop: Header=BB4_504 Depth=2
	flat_store_byte_d16_hi v[70:71], v17 offset:2
.LBB4_813:                              ;   in Loop: Header=BB4_504 Depth=2
	s_or_b32 exec_lo, exec_lo, s23
	s_mov_b32 s23, exec_lo
	v_cmpx_lt_u32_e32 3, v45
	s_cbranch_execz .LBB4_815
; %bb.814:                              ;   in Loop: Header=BB4_504 Depth=2
	v_lshrrev_b32_e32 v20, 24, v17
	flat_store_byte v[70:71], v20 offset:3
.LBB4_815:                              ;   in Loop: Header=BB4_504 Depth=2
	s_or_b32 exec_lo, exec_lo, s23
	s_mov_b32 s23, exec_lo
	v_cmpx_lt_u32_e32 4, v45
	s_cbranch_execz .LBB4_817
; %bb.816:                              ;   in Loop: Header=BB4_504 Depth=2
	flat_store_byte v[70:71], v19 offset:4
.LBB4_817:                              ;   in Loop: Header=BB4_504 Depth=2
	s_or_b32 exec_lo, exec_lo, s23
	s_mov_b32 s23, exec_lo
	v_cmpx_lt_u32_e32 5, v45
	s_cbranch_execz .LBB4_819
; %bb.818:                              ;   in Loop: Header=BB4_504 Depth=2
	v_lshrrev_b32_e32 v19, 8, v19
	flat_store_byte v[70:71], v19 offset:5
.LBB4_819:                              ;   in Loop: Header=BB4_504 Depth=2
	s_or_b32 exec_lo, exec_lo, s23
	s_mov_b32 s23, exec_lo
	v_cmpx_lt_u32_e32 6, v45
	s_cbranch_execz .LBB4_821
; %bb.820:                              ;   in Loop: Header=BB4_504 Depth=2
	flat_store_byte_d16_hi v[70:71], v18 offset:6
.LBB4_821:                              ;   in Loop: Header=BB4_504 Depth=2
	s_or_b32 exec_lo, exec_lo, s23
	s_and_saveexec_b32 s11, vcc_lo
	s_cbranch_execz .LBB4_823
; %bb.822:                              ;   in Loop: Header=BB4_504 Depth=2
	v_lshrrev_b32_e32 v19, 24, v18
	flat_store_byte v[70:71], v19 offset:7
.LBB4_823:                              ;   in Loop: Header=BB4_504 Depth=2
	s_or_b32 exec_lo, exec_lo, s11
	s_mov_b32 s11, 0
.LBB4_824:                              ;   in Loop: Header=BB4_504 Depth=2
	s_and_b32 vcc_lo, exec_lo, s11
	s_cbranch_vccz .LBB4_503
; %bb.825:                              ;   in Loop: Header=BB4_504 Depth=2
	global_store_dwordx2 v[70:71], v[17:18], off
	s_branch .LBB4_503
.LBB4_826:                              ;   in Loop: Header=BB4_504 Depth=2
	s_or_saveexec_b32 s24, s24
	v_mov_b32_e32 v18, 0x7f800001
	s_xor_b32 exec_lo, exec_lo, s24
	s_cbranch_execz .LBB4_525
.LBB4_827:                              ;   in Loop: Header=BB4_504 Depth=2
	v_cmp_ne_u16_sdwa s25, v17, v53 src0_sel:BYTE_0 src1_sel:DWORD
	v_mov_b32_e32 v18, 0
	s_andn2_b32 s23, s23, exec_lo
	s_and_b32 s25, s25, exec_lo
	s_or_b32 s23, s23, s25
	s_or_b32 exec_lo, exec_lo, s24
	s_and_saveexec_b32 s24, s23
	s_cbranch_execnz .LBB4_526
	s_branch .LBB4_527
.LBB4_828:                              ;   in Loop: Header=BB4_504 Depth=2
	s_or_saveexec_b32 s24, s24
	v_mov_b32_e32 v52, 0x7f800001
	s_xor_b32 exec_lo, exec_lo, s24
	s_cbranch_execz .LBB4_531
.LBB4_829:                              ;   in Loop: Header=BB4_504 Depth=2
	v_cmp_ne_u16_sdwa s25, v82, v53 src0_sel:BYTE_0 src1_sel:DWORD
	v_mov_b32_e32 v52, 0
	s_andn2_b32 s23, s23, exec_lo
	s_and_b32 s25, s25, exec_lo
	s_or_b32 s23, s23, s25
	s_or_b32 exec_lo, exec_lo, s24
	s_and_saveexec_b32 s24, s23
	s_cbranch_execnz .LBB4_532
	s_branch .LBB4_533
.LBB4_830:                              ;   in Loop: Header=BB4_504 Depth=2
	s_or_saveexec_b32 s24, s24
	v_mov_b32_e32 v18, 0x7f800001
	s_xor_b32 exec_lo, exec_lo, s24
	s_cbranch_execz .LBB4_539
.LBB4_831:                              ;   in Loop: Header=BB4_504 Depth=2
	v_cmp_ne_u16_sdwa s25, v17, v53 src0_sel:BYTE_0 src1_sel:DWORD
	v_mov_b32_e32 v18, 0
	s_andn2_b32 s23, s23, exec_lo
	s_and_b32 s25, s25, exec_lo
	s_or_b32 s23, s23, s25
	s_or_b32 exec_lo, exec_lo, s24
	s_and_saveexec_b32 s24, s23
	s_cbranch_execnz .LBB4_540
	s_branch .LBB4_541
.LBB4_832:                              ;   in Loop: Header=BB4_504 Depth=2
	s_or_saveexec_b32 s24, s24
	v_mov_b32_e32 v52, 0x7f800001
	s_xor_b32 exec_lo, exec_lo, s24
	s_cbranch_execz .LBB4_545
.LBB4_833:                              ;   in Loop: Header=BB4_504 Depth=2
	v_cmp_ne_u16_sdwa s25, v82, v53 src0_sel:BYTE_0 src1_sel:DWORD
	v_mov_b32_e32 v52, 0
	s_andn2_b32 s23, s23, exec_lo
	s_and_b32 s25, s25, exec_lo
	s_or_b32 s23, s23, s25
	s_or_b32 exec_lo, exec_lo, s24
	s_and_saveexec_b32 s24, s23
	s_cbranch_execnz .LBB4_546
	s_branch .LBB4_547
.LBB4_834:                              ;   in Loop: Header=BB4_504 Depth=2
	s_or_saveexec_b32 s24, s24
	v_mov_b32_e32 v52, 0x7f800001
	s_xor_b32 exec_lo, exec_lo, s24
	s_cbranch_execz .LBB4_561
.LBB4_835:                              ;   in Loop: Header=BB4_504 Depth=2
	v_cmp_ne_u16_sdwa s25, v17, v53 src0_sel:BYTE_1 src1_sel:DWORD
	v_mov_b32_e32 v52, 0
	s_andn2_b32 s23, s23, exec_lo
	s_and_b32 s25, s25, exec_lo
	s_or_b32 s23, s23, s25
	s_or_b32 exec_lo, exec_lo, s24
	s_and_saveexec_b32 s24, s23
	s_cbranch_execnz .LBB4_562
	s_branch .LBB4_563
.LBB4_836:                              ;   in Loop: Header=BB4_504 Depth=2
	s_or_saveexec_b32 s24, s24
	v_mov_b32_e32 v81, 0x7f800001
	s_xor_b32 exec_lo, exec_lo, s24
	s_cbranch_execz .LBB4_567
.LBB4_837:                              ;   in Loop: Header=BB4_504 Depth=2
	v_cmp_ne_u16_sdwa s25, v82, v53 src0_sel:BYTE_1 src1_sel:DWORD
	v_mov_b32_e32 v81, 0
	s_andn2_b32 s23, s23, exec_lo
	s_and_b32 s25, s25, exec_lo
	s_or_b32 s23, s23, s25
	s_or_b32 exec_lo, exec_lo, s24
	s_and_saveexec_b32 s24, s23
	s_cbranch_execnz .LBB4_568
	s_branch .LBB4_569
.LBB4_838:                              ;   in Loop: Header=BB4_504 Depth=2
	s_or_saveexec_b32 s24, s24
	v_mov_b32_e32 v52, 0x7f800001
	s_xor_b32 exec_lo, exec_lo, s24
	s_cbranch_execz .LBB4_575
.LBB4_839:                              ;   in Loop: Header=BB4_504 Depth=2
	v_cmp_ne_u16_sdwa s25, v17, v53 src0_sel:BYTE_1 src1_sel:DWORD
	v_mov_b32_e32 v52, 0
	s_andn2_b32 s23, s23, exec_lo
	s_and_b32 s25, s25, exec_lo
	s_or_b32 s23, s23, s25
	s_or_b32 exec_lo, exec_lo, s24
	s_and_saveexec_b32 s24, s23
	s_cbranch_execnz .LBB4_576
	s_branch .LBB4_577
.LBB4_840:                              ;   in Loop: Header=BB4_504 Depth=2
	s_or_saveexec_b32 s24, s24
	v_mov_b32_e32 v81, 0x7f800001
	s_xor_b32 exec_lo, exec_lo, s24
	s_cbranch_execz .LBB4_581
.LBB4_841:                              ;   in Loop: Header=BB4_504 Depth=2
	v_cmp_ne_u16_sdwa s25, v82, v53 src0_sel:BYTE_1 src1_sel:DWORD
	v_mov_b32_e32 v81, 0
	s_andn2_b32 s23, s23, exec_lo
	s_and_b32 s25, s25, exec_lo
	s_or_b32 s23, s23, s25
	s_or_b32 exec_lo, exec_lo, s24
	s_and_saveexec_b32 s24, s23
	s_cbranch_execnz .LBB4_582
	s_branch .LBB4_583
.LBB4_842:                              ;   in Loop: Header=BB4_504 Depth=2
	s_or_saveexec_b32 s24, s24
	v_mov_b32_e32 v81, 0x7f800001
	s_xor_b32 exec_lo, exec_lo, s24
	s_cbranch_execz .LBB4_597
.LBB4_843:                              ;   in Loop: Header=BB4_504 Depth=2
	v_cmp_ne_u16_e32 vcc_lo, 0, v46
	v_mov_b32_e32 v81, 0
	s_andn2_b32 s23, s23, exec_lo
	s_and_b32 s25, vcc_lo, exec_lo
	s_or_b32 s23, s23, s25
	s_or_b32 exec_lo, exec_lo, s24
	s_and_saveexec_b32 s24, s23
	s_cbranch_execnz .LBB4_598
	s_branch .LBB4_599
.LBB4_844:                              ;   in Loop: Header=BB4_504 Depth=2
	s_or_saveexec_b32 s24, s24
	v_mov_b32_e32 v46, 0x7f800001
	s_xor_b32 exec_lo, exec_lo, s24
	s_cbranch_execz .LBB4_603
.LBB4_845:                              ;   in Loop: Header=BB4_504 Depth=2
	v_cmp_ne_u16_e32 vcc_lo, 0, v47
	v_mov_b32_e32 v46, 0
	s_andn2_b32 s23, s23, exec_lo
	s_and_b32 s25, vcc_lo, exec_lo
	s_or_b32 s23, s23, s25
	s_or_b32 exec_lo, exec_lo, s24
	s_and_saveexec_b32 s24, s23
	s_cbranch_execnz .LBB4_604
	s_branch .LBB4_605
.LBB4_846:                              ;   in Loop: Header=BB4_504 Depth=2
	s_or_saveexec_b32 s24, s24
	v_mov_b32_e32 v81, 0x7f800001
	s_xor_b32 exec_lo, exec_lo, s24
	s_cbranch_execz .LBB4_611
.LBB4_847:                              ;   in Loop: Header=BB4_504 Depth=2
	v_cmp_ne_u16_e32 vcc_lo, 0, v46
	v_mov_b32_e32 v81, 0
	s_andn2_b32 s23, s23, exec_lo
	s_and_b32 s25, vcc_lo, exec_lo
	s_or_b32 s23, s23, s25
	s_or_b32 exec_lo, exec_lo, s24
	s_and_saveexec_b32 s24, s23
	s_cbranch_execnz .LBB4_612
	s_branch .LBB4_613
.LBB4_848:                              ;   in Loop: Header=BB4_504 Depth=2
	s_or_saveexec_b32 s24, s24
	v_mov_b32_e32 v46, 0x7f800001
	s_xor_b32 exec_lo, exec_lo, s24
	s_cbranch_execz .LBB4_617
.LBB4_849:                              ;   in Loop: Header=BB4_504 Depth=2
	v_cmp_ne_u16_e32 vcc_lo, 0, v47
	v_mov_b32_e32 v46, 0
	s_andn2_b32 s23, s23, exec_lo
	s_and_b32 s25, vcc_lo, exec_lo
	s_or_b32 s23, s23, s25
	s_or_b32 exec_lo, exec_lo, s24
	s_and_saveexec_b32 s24, s23
	s_cbranch_execnz .LBB4_618
	s_branch .LBB4_619
.LBB4_850:                              ;   in Loop: Header=BB4_504 Depth=2
	s_or_saveexec_b32 s24, s24
	v_mov_b32_e32 v46, 0x7f800001
	s_xor_b32 exec_lo, exec_lo, s24
	s_cbranch_execz .LBB4_633
.LBB4_851:                              ;   in Loop: Header=BB4_504 Depth=2
	v_cmp_ne_u16_sdwa s25, v17, v53 src0_sel:BYTE_3 src1_sel:DWORD
	v_mov_b32_e32 v46, 0
	s_andn2_b32 s23, s23, exec_lo
	s_and_b32 s25, s25, exec_lo
	s_or_b32 s23, s23, s25
	s_or_b32 exec_lo, exec_lo, s24
	s_and_saveexec_b32 s24, s23
	s_cbranch_execnz .LBB4_634
	s_branch .LBB4_635
.LBB4_852:                              ;   in Loop: Header=BB4_504 Depth=2
	s_or_saveexec_b32 s24, s24
	v_mov_b32_e32 v17, 0x7f800001
	s_xor_b32 exec_lo, exec_lo, s24
	s_cbranch_execz .LBB4_639
.LBB4_853:                              ;   in Loop: Header=BB4_504 Depth=2
	v_cmp_ne_u16_sdwa s25, v82, v53 src0_sel:BYTE_3 src1_sel:DWORD
	v_mov_b32_e32 v17, 0
	s_andn2_b32 s23, s23, exec_lo
	s_and_b32 s25, s25, exec_lo
	s_or_b32 s23, s23, s25
	s_or_b32 exec_lo, exec_lo, s24
	s_and_saveexec_b32 s24, s23
	s_cbranch_execnz .LBB4_640
	s_branch .LBB4_641
.LBB4_854:                              ;   in Loop: Header=BB4_504 Depth=2
	s_or_saveexec_b32 s24, s24
	v_mov_b32_e32 v46, 0x7f800001
	s_xor_b32 exec_lo, exec_lo, s24
	s_cbranch_execz .LBB4_647
.LBB4_855:                              ;   in Loop: Header=BB4_504 Depth=2
	v_cmp_ne_u16_sdwa s25, v17, v53 src0_sel:BYTE_3 src1_sel:DWORD
	v_mov_b32_e32 v46, 0
	s_andn2_b32 s23, s23, exec_lo
	s_and_b32 s25, s25, exec_lo
	s_or_b32 s23, s23, s25
	s_or_b32 exec_lo, exec_lo, s24
	s_and_saveexec_b32 s24, s23
	s_cbranch_execnz .LBB4_648
	s_branch .LBB4_649
.LBB4_856:                              ;   in Loop: Header=BB4_504 Depth=2
	s_or_saveexec_b32 s24, s24
	v_mov_b32_e32 v17, 0x7f800001
	s_xor_b32 exec_lo, exec_lo, s24
	s_cbranch_execz .LBB4_653
.LBB4_857:                              ;   in Loop: Header=BB4_504 Depth=2
	v_cmp_ne_u16_sdwa s25, v82, v53 src0_sel:BYTE_3 src1_sel:DWORD
	v_mov_b32_e32 v17, 0
	s_andn2_b32 s23, s23, exec_lo
	s_and_b32 s25, s25, exec_lo
	s_or_b32 s23, s23, s25
	s_or_b32 exec_lo, exec_lo, s24
	s_and_saveexec_b32 s24, s23
	s_cbranch_execnz .LBB4_654
	s_branch .LBB4_655
.LBB4_858:                              ;   in Loop: Header=BB4_504 Depth=2
	s_or_saveexec_b32 s24, s24
	v_mov_b32_e32 v20, 0x7f800001
	s_xor_b32 exec_lo, exec_lo, s24
	s_cbranch_execz .LBB4_669
.LBB4_859:                              ;   in Loop: Header=BB4_504 Depth=2
	v_cmp_ne_u16_sdwa s25, v19, v53 src0_sel:BYTE_0 src1_sel:DWORD
	v_mov_b32_e32 v20, 0
	s_andn2_b32 s23, s23, exec_lo
	s_and_b32 s25, s25, exec_lo
	s_or_b32 s23, s23, s25
	s_or_b32 exec_lo, exec_lo, s24
	s_and_saveexec_b32 s24, s23
	s_cbranch_execnz .LBB4_670
	s_branch .LBB4_671
.LBB4_860:                              ;   in Loop: Header=BB4_504 Depth=2
	s_or_saveexec_b32 s24, s24
	v_mov_b32_e32 v96, 0x7f800001
	s_xor_b32 exec_lo, exec_lo, s24
	s_cbranch_execz .LBB4_675
.LBB4_861:                              ;   in Loop: Header=BB4_504 Depth=2
	v_cmp_ne_u16_sdwa s25, v82, v53 src0_sel:BYTE_0 src1_sel:DWORD
	v_mov_b32_e32 v96, 0
	s_andn2_b32 s23, s23, exec_lo
	s_and_b32 s25, s25, exec_lo
	s_or_b32 s23, s23, s25
	s_or_b32 exec_lo, exec_lo, s24
	s_and_saveexec_b32 s24, s23
	s_cbranch_execnz .LBB4_676
	s_branch .LBB4_677
.LBB4_862:                              ;   in Loop: Header=BB4_504 Depth=2
	s_or_saveexec_b32 s24, s24
	v_mov_b32_e32 v20, 0x7f800001
	s_xor_b32 exec_lo, exec_lo, s24
	s_cbranch_execz .LBB4_683
.LBB4_863:                              ;   in Loop: Header=BB4_504 Depth=2
	v_cmp_ne_u16_sdwa s25, v19, v53 src0_sel:BYTE_0 src1_sel:DWORD
	v_mov_b32_e32 v20, 0
	s_andn2_b32 s23, s23, exec_lo
	s_and_b32 s25, s25, exec_lo
	s_or_b32 s23, s23, s25
	s_or_b32 exec_lo, exec_lo, s24
	s_and_saveexec_b32 s24, s23
	s_cbranch_execnz .LBB4_684
	s_branch .LBB4_685
.LBB4_864:                              ;   in Loop: Header=BB4_504 Depth=2
	s_or_saveexec_b32 s24, s24
	v_mov_b32_e32 v96, 0x7f800001
	s_xor_b32 exec_lo, exec_lo, s24
	s_cbranch_execz .LBB4_689
.LBB4_865:                              ;   in Loop: Header=BB4_504 Depth=2
	v_cmp_ne_u16_sdwa s25, v82, v53 src0_sel:BYTE_0 src1_sel:DWORD
	v_mov_b32_e32 v96, 0
	s_andn2_b32 s23, s23, exec_lo
	s_and_b32 s25, s25, exec_lo
	s_or_b32 s23, s23, s25
	s_or_b32 exec_lo, exec_lo, s24
	s_and_saveexec_b32 s24, s23
	s_cbranch_execnz .LBB4_690
	s_branch .LBB4_691
.LBB4_866:                              ;   in Loop: Header=BB4_504 Depth=2
	s_or_saveexec_b32 s24, s24
	v_mov_b32_e32 v20, 0x7f800001
	s_xor_b32 exec_lo, exec_lo, s24
	s_cbranch_execz .LBB4_705
.LBB4_867:                              ;   in Loop: Header=BB4_504 Depth=2
	v_cmp_ne_u16_sdwa s25, v19, v53 src0_sel:BYTE_1 src1_sel:DWORD
	v_mov_b32_e32 v20, 0
	s_andn2_b32 s23, s23, exec_lo
	s_and_b32 s25, s25, exec_lo
	s_or_b32 s23, s23, s25
	s_or_b32 exec_lo, exec_lo, s24
	s_and_saveexec_b32 s24, s23
	s_cbranch_execnz .LBB4_706
	s_branch .LBB4_707
.LBB4_868:                              ;   in Loop: Header=BB4_504 Depth=2
	s_or_saveexec_b32 s24, s24
	v_mov_b32_e32 v97, 0x7f800001
	s_xor_b32 exec_lo, exec_lo, s24
	s_cbranch_execz .LBB4_711
.LBB4_869:                              ;   in Loop: Header=BB4_504 Depth=2
	v_cmp_ne_u16_sdwa s25, v82, v53 src0_sel:BYTE_1 src1_sel:DWORD
	v_mov_b32_e32 v97, 0
	s_andn2_b32 s23, s23, exec_lo
	s_and_b32 s25, s25, exec_lo
	s_or_b32 s23, s23, s25
	s_or_b32 exec_lo, exec_lo, s24
	s_and_saveexec_b32 s24, s23
	s_cbranch_execnz .LBB4_712
	s_branch .LBB4_713
.LBB4_870:                              ;   in Loop: Header=BB4_504 Depth=2
	s_or_saveexec_b32 s24, s24
	v_mov_b32_e32 v20, 0x7f800001
	s_xor_b32 exec_lo, exec_lo, s24
	s_cbranch_execz .LBB4_719
.LBB4_871:                              ;   in Loop: Header=BB4_504 Depth=2
	v_cmp_ne_u16_sdwa s25, v19, v53 src0_sel:BYTE_1 src1_sel:DWORD
	v_mov_b32_e32 v20, 0
	s_andn2_b32 s23, s23, exec_lo
	s_and_b32 s25, s25, exec_lo
	s_or_b32 s23, s23, s25
	s_or_b32 exec_lo, exec_lo, s24
	s_and_saveexec_b32 s24, s23
	s_cbranch_execnz .LBB4_720
	s_branch .LBB4_721
.LBB4_872:                              ;   in Loop: Header=BB4_504 Depth=2
	s_or_saveexec_b32 s24, s24
	v_mov_b32_e32 v97, 0x7f800001
	s_xor_b32 exec_lo, exec_lo, s24
	s_cbranch_execz .LBB4_725
.LBB4_873:                              ;   in Loop: Header=BB4_504 Depth=2
	v_cmp_ne_u16_sdwa s25, v82, v53 src0_sel:BYTE_1 src1_sel:DWORD
	v_mov_b32_e32 v97, 0
	s_andn2_b32 s23, s23, exec_lo
	s_and_b32 s25, s25, exec_lo
	s_or_b32 s23, s23, s25
	s_or_b32 exec_lo, exec_lo, s24
	s_and_saveexec_b32 s24, s23
	s_cbranch_execnz .LBB4_726
	s_branch .LBB4_727
.LBB4_874:                              ;   in Loop: Header=BB4_504 Depth=2
	s_or_saveexec_b32 s24, s24
	v_mov_b32_e32 v20, 0x7f800001
	s_xor_b32 exec_lo, exec_lo, s24
	s_cbranch_execz .LBB4_741
.LBB4_875:                              ;   in Loop: Header=BB4_504 Depth=2
	v_cmp_ne_u16_e32 vcc_lo, 0, v46
	v_mov_b32_e32 v20, 0
	s_andn2_b32 s23, s23, exec_lo
	s_and_b32 s25, vcc_lo, exec_lo
	s_or_b32 s23, s23, s25
	s_or_b32 exec_lo, exec_lo, s24
	s_and_saveexec_b32 s24, s23
	s_cbranch_execnz .LBB4_742
	s_branch .LBB4_743
.LBB4_876:                              ;   in Loop: Header=BB4_504 Depth=2
	s_or_saveexec_b32 s24, s24
	v_mov_b32_e32 v46, 0x7f800001
	s_xor_b32 exec_lo, exec_lo, s24
	s_cbranch_execz .LBB4_747
.LBB4_877:                              ;   in Loop: Header=BB4_504 Depth=2
	v_cmp_ne_u16_e32 vcc_lo, 0, v47
	v_mov_b32_e32 v46, 0
	s_andn2_b32 s23, s23, exec_lo
	s_and_b32 s25, vcc_lo, exec_lo
	s_or_b32 s23, s23, s25
	s_or_b32 exec_lo, exec_lo, s24
	s_and_saveexec_b32 s24, s23
	s_cbranch_execnz .LBB4_748
	s_branch .LBB4_749
.LBB4_878:                              ;   in Loop: Header=BB4_504 Depth=2
	s_or_saveexec_b32 s24, s24
	v_mov_b32_e32 v20, 0x7f800001
	s_xor_b32 exec_lo, exec_lo, s24
	s_cbranch_execz .LBB4_755
.LBB4_879:                              ;   in Loop: Header=BB4_504 Depth=2
	v_cmp_ne_u16_e32 vcc_lo, 0, v46
	v_mov_b32_e32 v20, 0
	s_andn2_b32 s23, s23, exec_lo
	s_and_b32 s25, vcc_lo, exec_lo
	s_or_b32 s23, s23, s25
	s_or_b32 exec_lo, exec_lo, s24
	s_and_saveexec_b32 s24, s23
	s_cbranch_execnz .LBB4_756
	s_branch .LBB4_757
.LBB4_880:                              ;   in Loop: Header=BB4_504 Depth=2
	s_or_saveexec_b32 s24, s24
	v_mov_b32_e32 v46, 0x7f800001
	s_xor_b32 exec_lo, exec_lo, s24
	s_cbranch_execz .LBB4_761
.LBB4_881:                              ;   in Loop: Header=BB4_504 Depth=2
	v_cmp_ne_u16_e32 vcc_lo, 0, v47
	v_mov_b32_e32 v46, 0
	s_andn2_b32 s23, s23, exec_lo
	s_and_b32 s25, vcc_lo, exec_lo
	s_or_b32 s23, s23, s25
	s_or_b32 exec_lo, exec_lo, s24
	s_and_saveexec_b32 s24, s23
	s_cbranch_execnz .LBB4_762
	s_branch .LBB4_763
.LBB4_882:                              ;   in Loop: Header=BB4_504 Depth=2
	s_or_saveexec_b32 s24, s24
	v_mov_b32_e32 v20, 0x7f800001
	s_xor_b32 exec_lo, exec_lo, s24
	s_cbranch_execz .LBB4_777
.LBB4_883:                              ;   in Loop: Header=BB4_504 Depth=2
	v_cmp_ne_u16_sdwa s25, v19, v53 src0_sel:BYTE_3 src1_sel:DWORD
	v_mov_b32_e32 v20, 0
	s_andn2_b32 s23, s23, exec_lo
	s_and_b32 s25, s25, exec_lo
	s_or_b32 s23, s23, s25
	s_or_b32 exec_lo, exec_lo, s24
	s_and_saveexec_b32 s24, s23
	s_cbranch_execnz .LBB4_778
	s_branch .LBB4_779
.LBB4_884:                              ;   in Loop: Header=BB4_504 Depth=2
	s_or_saveexec_b32 s24, s24
	v_mov_b32_e32 v19, 0x7f800001
	s_xor_b32 exec_lo, exec_lo, s24
	s_cbranch_execz .LBB4_783
.LBB4_885:                              ;   in Loop: Header=BB4_504 Depth=2
	v_cmp_ne_u16_sdwa s25, v82, v53 src0_sel:BYTE_3 src1_sel:DWORD
	v_mov_b32_e32 v19, 0
	s_andn2_b32 s23, s23, exec_lo
	s_and_b32 s25, s25, exec_lo
	s_or_b32 s23, s23, s25
	s_or_b32 exec_lo, exec_lo, s24
	s_and_saveexec_b32 s24, s23
	s_cbranch_execnz .LBB4_784
	s_branch .LBB4_785
.LBB4_886:                              ;   in Loop: Header=BB4_504 Depth=2
	s_or_saveexec_b32 s24, s24
	v_mov_b32_e32 v20, 0x7f800001
	s_xor_b32 exec_lo, exec_lo, s24
	s_cbranch_execz .LBB4_791
.LBB4_887:                              ;   in Loop: Header=BB4_504 Depth=2
	v_cmp_ne_u16_sdwa s25, v19, v53 src0_sel:BYTE_3 src1_sel:DWORD
	v_mov_b32_e32 v20, 0
	s_andn2_b32 s23, s23, exec_lo
	s_and_b32 s25, s25, exec_lo
	s_or_b32 s23, s23, s25
	s_or_b32 exec_lo, exec_lo, s24
	s_and_saveexec_b32 s24, s23
	s_cbranch_execnz .LBB4_792
	s_branch .LBB4_793
.LBB4_888:                              ;   in Loop: Header=BB4_504 Depth=2
	s_or_saveexec_b32 s24, s24
	v_mov_b32_e32 v19, 0x7f800001
	s_xor_b32 exec_lo, exec_lo, s24
	s_cbranch_execz .LBB4_797
.LBB4_889:                              ;   in Loop: Header=BB4_504 Depth=2
	v_cmp_ne_u16_sdwa s25, v82, v53 src0_sel:BYTE_3 src1_sel:DWORD
	v_mov_b32_e32 v19, 0
	s_andn2_b32 s23, s23, exec_lo
	s_and_b32 s25, s25, exec_lo
	s_or_b32 s23, s23, s25
	s_or_b32 exec_lo, exec_lo, s24
	s_and_saveexec_b32 s24, s23
	s_cbranch_execnz .LBB4_798
	s_branch .LBB4_799
.LBB4_890:                              ;   in Loop: Header=BB4_21 Depth=1
	s_or_b32 exec_lo, exec_lo, s12
	s_and_saveexec_b32 s11, s7
	s_cbranch_execz .LBB4_903
.LBB4_891:                              ;   in Loop: Header=BB4_21 Depth=1
	s_and_saveexec_b32 s12, s19
	s_xor_b32 s12, exec_lo, s12
	s_cbranch_execz .LBB4_908
; %bb.892:                              ;   in Loop: Header=BB4_21 Depth=1
	s_and_saveexec_b32 s22, s8
	s_cbranch_execz .LBB4_907
; %bb.893:                              ;   in Loop: Header=BB4_21 Depth=1
	s_mov_b32 s24, exec_lo
	s_mov_b32 s23, exec_lo
	v_mbcnt_lo_u32_b32 v17, s24, 0
	s_waitcnt vmcnt(0) lgkmcnt(0)
	s_waitcnt_vscnt null, 0x0
	buffer_gl1_inv
	buffer_gl0_inv
	v_cmpx_eq_u32_e32 0, v17
	s_cbranch_execz .LBB4_895
; %bb.894:                              ;   in Loop: Header=BB4_21 Depth=1
	s_bcnt1_i32_b32 s24, s24
	v_mov_b32_e32 v52, s24
	ds_add_u64 v0, v[52:53]
	s_trap 2
.LBB4_895:                              ;   in Loop: Header=BB4_21 Depth=1
	s_or_b32 exec_lo, exec_lo, s23
	s_trap 2
	ds_read_b64 v[17:18], v0
	s_waitcnt lgkmcnt(0)
	buffer_gl0_inv
	v_add_co_u32 v2, vcc_lo, v2, v100
	v_add_co_ci_u32_e64 v3, null, 0, v3, vcc_lo
	s_mov_b32 s23, exec_lo
	v_cmpx_lt_u64_e64 v[17:18], v[2:3]
	s_cbranch_execz .LBB4_906
; %bb.896:                              ;   in Loop: Header=BB4_21 Depth=1
	s_mov_b32 s24, 0
	s_mov_b32 s27, 0
                                        ; implicit-def: $sgpr25
                                        ; implicit-def: $sgpr26
	s_inst_prefetch 0x1
	s_branch .LBB4_898
	.p2align	6
.LBB4_897:                              ;   in Loop: Header=BB4_898 Depth=2
	s_or_b32 exec_lo, exec_lo, s29
	s_and_b32 s28, exec_lo, s40
	s_or_b32 s24, s28, s24
	s_andn2_b32 s25, s25, exec_lo
	s_and_b32 s28, s26, exec_lo
	s_or_b32 s25, s25, s28
	s_andn2_b32 exec_lo, exec_lo, s24
	s_cbranch_execz .LBB4_904
.LBB4_898:                              ;   Parent Loop BB4_21 Depth=1
                                        ; =>  This Inner Loop Header: Depth=2
	s_add_i32 s27, s27, 1
	s_cmpk_lg_i32 s27, 0x2710
	s_cselect_b32 s28, -1, 0
	s_and_b32 vcc_lo, exec_lo, s28
	s_cbranch_vccz .LBB4_900
; %bb.899:                              ;   in Loop: Header=BB4_898 Depth=2
	s_mov_b32 s40, -1
	s_or_b32 s26, s26, exec_lo
	s_and_saveexec_b32 s29, s28
	s_cbranch_execz .LBB4_897
	s_branch .LBB4_901
	.p2align	6
.LBB4_900:                              ;   in Loop: Header=BB4_898 Depth=2
	s_trap 2
	ds_read_b64 v[17:18], v0
	s_andn2_b32 s28, s28, exec_lo
	s_mov_b32 s27, 0
	s_waitcnt lgkmcnt(0)
	flat_load_dword v17, v[17:18] glc dlc
	s_waitcnt vmcnt(0) lgkmcnt(0)
	buffer_gl1_inv
	buffer_gl0_inv
	v_cmp_eq_u32_e32 vcc_lo, 0, v17
	s_and_b32 s29, vcc_lo, exec_lo
	s_or_b32 s28, s28, s29
	s_mov_b32 s40, -1
	s_or_b32 s26, s26, exec_lo
	s_and_saveexec_b32 s29, s28
	s_cbranch_execz .LBB4_897
.LBB4_901:                              ;   in Loop: Header=BB4_898 Depth=2
	s_sleep 1
	s_trap 2
	ds_read_b64 v[17:18], v0
	s_waitcnt lgkmcnt(0)
	buffer_gl0_inv
	s_andn2_b32 s26, s26, exec_lo
	v_cmp_ge_u64_e32 vcc_lo, v[17:18], v[2:3]
	s_orn2_b32 s40, vcc_lo, exec_lo
	s_branch .LBB4_897
.LBB4_902:                              ;   in Loop: Header=BB4_21 Depth=1
	s_or_b32 exec_lo, exec_lo, s22
	s_or_b32 exec_lo, exec_lo, s12
	s_and_saveexec_b32 s11, s7
	s_cbranch_execnz .LBB4_891
.LBB4_903:                              ;   in Loop: Header=BB4_21 Depth=1
	s_or_b32 exec_lo, exec_lo, s11
	s_and_saveexec_b32 s11, s10
	s_cbranch_execz .LBB4_20
	s_branch .LBB4_911
.LBB4_904:                              ;   in Loop: Header=BB4_21 Depth=1
	s_inst_prefetch 0x2
	s_or_b32 exec_lo, exec_lo, s24
	s_and_saveexec_b32 s24, s25
	s_xor_b32 s24, exec_lo, s24
	s_cbranch_execz .LBB4_906
; %bb.905:                              ;   in Loop: Header=BB4_21 Depth=1
	ds_write_b32 v0, v118
	s_trap 2
.LBB4_906:                              ;   in Loop: Header=BB4_21 Depth=1
	s_or_b32 exec_lo, exec_lo, s23
	;;#ASMSTART
	s_wakeup
	;;#ASMEND
.LBB4_907:                              ;   in Loop: Header=BB4_21 Depth=1
	s_or_b32 exec_lo, exec_lo, s22
.LBB4_908:                              ;   in Loop: Header=BB4_21 Depth=1
	s_andn2_saveexec_b32 s12, s12
	s_cbranch_execz .LBB4_910
; %bb.909:                              ;   in Loop: Header=BB4_21 Depth=1
	s_waitcnt vmcnt(0) lgkmcnt(0)
	s_waitcnt_vscnt null, 0x0
	buffer_gl1_inv
	buffer_gl0_inv
	s_barrier
.LBB4_910:                              ;   in Loop: Header=BB4_21 Depth=1
	s_or_b32 exec_lo, exec_lo, s12
	s_or_b32 exec_lo, exec_lo, s11
	s_and_saveexec_b32 s11, s10
	s_cbranch_execz .LBB4_20
.LBB4_911:                              ;   in Loop: Header=BB4_21 Depth=1
	v_add_co_u32 v38, vcc_lo, v38, 1
	v_add_co_ci_u32_e64 v39, null, 0, v39, vcc_lo
	s_waitcnt vmcnt(0) lgkmcnt(0)
	s_waitcnt_vscnt null, 0x0
	flat_store_dwordx2 v[48:49], v[38:39]
	s_branch .LBB4_20
.LBB4_912:
	s_or_b32 exec_lo, exec_lo, s17
	s_and_saveexec_b32 s5, s16
	s_cbranch_execz .LBB4_915
.LBB4_913:
	s_waitcnt vmcnt(0) lgkmcnt(0)
	flat_store_dwordx2 v[29:30], v[38:39] offset:104
	s_or_b32 exec_lo, exec_lo, s5
	s_and_saveexec_b32 s5, s4
	s_cbranch_execnz .LBB4_916
	s_branch .LBB4_917
.LBB4_914:
	s_or_b32 exec_lo, exec_lo, s20
	s_or_b32 exec_lo, exec_lo, s17
	s_and_saveexec_b32 s5, s16
	s_cbranch_execnz .LBB4_913
.LBB4_915:
	s_or_b32 exec_lo, exec_lo, s5
	s_and_saveexec_b32 s5, s4
	s_cbranch_execz .LBB4_917
.LBB4_916:
	s_waitcnt vmcnt(0) lgkmcnt(0)
	flat_store_dwordx2 v[27:28], v[15:16] offset:104
.LBB4_917:
	s_or_b32 exec_lo, exec_lo, s5
	s_mov_b32 s4, exec_lo
	v_cmpx_ne_u32_e32 32, v1
	s_cbranch_execz .LBB4_935
; %bb.918:
	v_cmp_ne_u32_sdwa s5, v1, v0 src0_sel:DWORD src1_sel:WORD_0
	s_and_saveexec_b32 s6, s5
	s_xor_b32 s5, exec_lo, s6
	s_cbranch_execz .LBB4_933
; %bb.919:
	v_and_b32_e32 v0, 31, v31
	s_mov_b32 s6, exec_lo
	v_cmpx_eq_u32_e32 0, v0
	s_cbranch_execz .LBB4_932
; %bb.920:
	s_mov_b32 s8, exec_lo
	s_mov_b32 s7, exec_lo
	v_mbcnt_lo_u32_b32 v0, s8, 0
	s_waitcnt vmcnt(0) lgkmcnt(0)
	s_waitcnt_vscnt null, 0x0
	buffer_gl1_inv
	buffer_gl0_inv
	v_cmpx_eq_u32_e32 0, v0
	s_cbranch_execz .LBB4_922
; %bb.921:
	s_bcnt1_i32_b32 s8, s8
	v_mov_b32_e32 v5, 0
	v_mov_b32_e32 v4, s8
	ds_add_u64 v0, v[4:5]
	s_trap 2
.LBB4_922:
	s_or_b32 exec_lo, exec_lo, s7
	s_trap 2
	ds_read_b64 v[4:5], v0
	s_waitcnt lgkmcnt(0)
	buffer_gl0_inv
	v_lshrrev_b32_e32 v0, 5, v1
	s_mov_b32 s7, exec_lo
	v_add_co_u32 v0, vcc_lo, v2, v0
	v_add_co_ci_u32_e64 v1, null, 0, v3, vcc_lo
	v_cmpx_lt_u64_e64 v[4:5], v[0:1]
	s_cbranch_execz .LBB4_931
; %bb.923:
	s_mov_b32 s8, 0
	s_mov_b32 s11, 0
                                        ; implicit-def: $sgpr9
                                        ; implicit-def: $sgpr10
	s_inst_prefetch 0x1
	s_branch .LBB4_925
	.p2align	6
.LBB4_924:                              ;   in Loop: Header=BB4_925 Depth=1
	s_or_b32 exec_lo, exec_lo, s13
	s_and_b32 s12, exec_lo, s14
	s_or_b32 s8, s12, s8
	s_andn2_b32 s9, s9, exec_lo
	s_and_b32 s12, s10, exec_lo
	s_or_b32 s9, s9, s12
	s_andn2_b32 exec_lo, exec_lo, s8
	s_cbranch_execz .LBB4_929
.LBB4_925:                              ; =>This Inner Loop Header: Depth=1
	s_add_i32 s11, s11, 1
	s_cmpk_lg_i32 s11, 0x2710
	s_cselect_b32 s12, -1, 0
	s_and_b32 vcc_lo, exec_lo, s12
	s_cbranch_vccz .LBB4_927
; %bb.926:                              ;   in Loop: Header=BB4_925 Depth=1
	s_mov_b32 s14, -1
	s_or_b32 s10, s10, exec_lo
	s_and_saveexec_b32 s13, s12
	s_cbranch_execz .LBB4_924
	s_branch .LBB4_928
	.p2align	6
.LBB4_927:                              ;   in Loop: Header=BB4_925 Depth=1
	s_trap 2
	ds_read_b64 v[2:3], v0
	s_andn2_b32 s12, s12, exec_lo
	s_mov_b32 s11, 0
	s_waitcnt lgkmcnt(0)
	flat_load_dword v2, v[2:3] glc dlc
	s_waitcnt vmcnt(0) lgkmcnt(0)
	buffer_gl1_inv
	buffer_gl0_inv
	v_cmp_eq_u32_e32 vcc_lo, 0, v2
	s_and_b32 s13, vcc_lo, exec_lo
	s_or_b32 s12, s12, s13
	s_mov_b32 s14, -1
	s_or_b32 s10, s10, exec_lo
	s_and_saveexec_b32 s13, s12
	s_cbranch_execz .LBB4_924
.LBB4_928:                              ;   in Loop: Header=BB4_925 Depth=1
	s_sleep 1
	s_trap 2
	ds_read_b64 v[2:3], v0
	s_waitcnt lgkmcnt(0)
	buffer_gl0_inv
	s_andn2_b32 s10, s10, exec_lo
	v_cmp_ge_u64_e32 vcc_lo, v[2:3], v[0:1]
	s_orn2_b32 s14, vcc_lo, exec_lo
	s_branch .LBB4_924
.LBB4_929:
	s_inst_prefetch 0x2
	s_or_b32 exec_lo, exec_lo, s8
	s_and_saveexec_b32 s8, s9
	s_xor_b32 s8, exec_lo, s8
	s_cbranch_execz .LBB4_931
; %bb.930:
	v_mov_b32_e32 v0, 1
	ds_write_b32 v0, v0
	s_trap 2
.LBB4_931:
	s_or_b32 exec_lo, exec_lo, s7
	;;#ASMSTART
	s_wakeup
	;;#ASMEND
.LBB4_932:
	s_or_b32 exec_lo, exec_lo, s6
.LBB4_933:
	s_andn2_saveexec_b32 s5, s5
	s_cbranch_execz .LBB4_935
; %bb.934:
	s_waitcnt vmcnt(0) lgkmcnt(0)
	s_waitcnt_vscnt null, 0x0
	buffer_gl1_inv
	buffer_gl0_inv
	s_barrier
.LBB4_935:
	s_or_b32 exec_lo, exec_lo, s4
	s_clause 0x16
	buffer_load_dword v78, off, s[0:3], s32
	buffer_load_dword v77, off, s[0:3], s32 offset:4
	buffer_load_dword v76, off, s[0:3], s32 offset:8
	;; [unrolled: 1-line block ×22, first 2 shown]
	s_waitcnt vmcnt(0) lgkmcnt(0)
	s_setpc_b64 s[30:31]
.Lfunc_end4:
	.size	_ZN12_GLOBAL__N_17runRingI12rccl_bfloat810FuncMinMaxIS1_E7ProtoLLLi0ELi4ELi0EEEviiP15ncclDevWorkColl, .Lfunc_end4-_ZN12_GLOBAL__N_17runRingI12rccl_bfloat810FuncMinMaxIS1_E7ProtoLLLi0ELi4ELi0EEEviiP15ncclDevWorkColl
                                        ; -- End function
	.set .L_ZN12_GLOBAL__N_17runRingI12rccl_bfloat810FuncMinMaxIS1_E7ProtoLLLi0ELi4ELi0EEEviiP15ncclDevWorkColl.num_vgpr, 120
	.set .L_ZN12_GLOBAL__N_17runRingI12rccl_bfloat810FuncMinMaxIS1_E7ProtoLLLi0ELi4ELi0EEEviiP15ncclDevWorkColl.num_agpr, 0
	.set .L_ZN12_GLOBAL__N_17runRingI12rccl_bfloat810FuncMinMaxIS1_E7ProtoLLLi0ELi4ELi0EEEviiP15ncclDevWorkColl.numbered_sgpr, 45
	.set .L_ZN12_GLOBAL__N_17runRingI12rccl_bfloat810FuncMinMaxIS1_E7ProtoLLLi0ELi4ELi0EEEviiP15ncclDevWorkColl.num_named_barrier, 0
	.set .L_ZN12_GLOBAL__N_17runRingI12rccl_bfloat810FuncMinMaxIS1_E7ProtoLLLi0ELi4ELi0EEEviiP15ncclDevWorkColl.private_seg_size, 96
	.set .L_ZN12_GLOBAL__N_17runRingI12rccl_bfloat810FuncMinMaxIS1_E7ProtoLLLi0ELi4ELi0EEEviiP15ncclDevWorkColl.uses_vcc, 1
	.set .L_ZN12_GLOBAL__N_17runRingI12rccl_bfloat810FuncMinMaxIS1_E7ProtoLLLi0ELi4ELi0EEEviiP15ncclDevWorkColl.uses_flat_scratch, 1
	.set .L_ZN12_GLOBAL__N_17runRingI12rccl_bfloat810FuncMinMaxIS1_E7ProtoLLLi0ELi4ELi0EEEviiP15ncclDevWorkColl.has_dyn_sized_stack, 0
	.set .L_ZN12_GLOBAL__N_17runRingI12rccl_bfloat810FuncMinMaxIS1_E7ProtoLLLi0ELi4ELi0EEEviiP15ncclDevWorkColl.has_recursion, 0
	.set .L_ZN12_GLOBAL__N_17runRingI12rccl_bfloat810FuncMinMaxIS1_E7ProtoLLLi0ELi4ELi0EEEviiP15ncclDevWorkColl.has_indirect_call, 0
	.section	.AMDGPU.csdata,"",@progbits
; Function info:
; codeLenInByte = 30376
; TotalNumSgprs: 47
; NumVgprs: 120
; ScratchSize: 96
; MemoryBound: 0
	.text
	.p2align	2                               ; -- Begin function _Z53ncclDevFunc_ReduceScatter_RING_LL_MinMax_f8e5m2_0_0_4v
	.type	_Z53ncclDevFunc_ReduceScatter_RING_LL_MinMax_f8e5m2_0_0_4v,@function
_Z53ncclDevFunc_ReduceScatter_RING_LL_MinMax_f8e5m2_0_0_4v: ; @_Z53ncclDevFunc_ReduceScatter_RING_LL_MinMax_f8e5m2_0_0_4v
; %bb.0:
	s_waitcnt vmcnt(0) expcnt(0) lgkmcnt(0)
	s_mov_b32 s58, s33
	s_mov_b32 s33, s32
	s_or_saveexec_b32 s4, -1
	buffer_store_dword v42, off, s[0:3], s33 offset:8 ; 4-byte Folded Spill
	s_mov_b32 exec_lo, s4
	s_addk_i32 s32, 0x200
	buffer_store_dword v40, off, s[0:3], s33 offset:4 ; 4-byte Folded Spill
	buffer_store_dword v41, off, s[0:3], s33 ; 4-byte Folded Spill
	v_writelane_b32 v42, s30, 0
	v_writelane_b32 v42, s31, 1
	s_trap 2
	ds_read_b32 v0, v0
	v_and_b32_e32 v40, 0x3ff, v31
	s_mov_b32 s45, s12
	s_mov_b64 s[46:47], s[8:9]
	s_mov_b32 s4, exec_lo
	s_waitcnt lgkmcnt(0)
	v_cmpx_lt_i32_e64 v40, v0
	s_cbranch_execz .LBB5_5
; %bb.1:
	s_load_dword s5, s[46:47], 0x0
	v_mov_b32_e32 v1, 0
	v_mov_b32_e32 v3, v40
                                        ; implicit-def: $vgpr4
	s_waitcnt lgkmcnt(0)
	s_cmp_lt_u32 s45, s5
	s_cselect_b32 s5, 12, 18
	s_add_u32 s6, s46, s5
	s_addc_u32 s7, s47, 0
	s_mov_b32 s5, 0
	global_load_ushort v1, v1, s[6:7]
	s_trap 2
	ds_read_b32 v2, v0
	s_mov_b32 s6, 0
	s_waitcnt vmcnt(0) lgkmcnt(0)
	v_mul_lo_u32 v2, v2, v1
	s_branch .LBB5_3
	.p2align	6
.LBB5_2:                                ;   in Loop: Header=BB5_3 Depth=1
	s_or_b32 exec_lo, exec_lo, s7
	v_add_nc_u32_e32 v3, v3, v1
	v_add_nc_u32_e32 v4, v4, v2
	v_cmp_ge_i32_e32 vcc_lo, v3, v0
	s_or_b32 s6, vcc_lo, s6
	s_andn2_b32 exec_lo, exec_lo, s6
	s_cbranch_execz .LBB5_5
.LBB5_3:                                ; =>This Inner Loop Header: Depth=1
	ds_read_b32 v5, v4
	s_mov_b32 s7, exec_lo
	s_waitcnt lgkmcnt(0)
	v_and_b32_e32 v5, 0x1000000, v5
	v_cmpx_ne_u32_e32 0, v5
	s_cbranch_execz .LBB5_2
; %bb.4:                                ;   in Loop: Header=BB5_3 Depth=1
	ds_read_b64 v[5:6], v4 offset:104
	s_waitcnt lgkmcnt(0)
	flat_load_ubyte v5, v[5:6]
	v_mov_b32_e32 v6, s5
	s_waitcnt vmcnt(0) lgkmcnt(0)
	v_and_b32_e32 v5, 0xffff, v5
	ds_write_b64 v4, v[5:6] offset:104
	s_branch .LBB5_2
.LBB5_5:
	s_or_b32 exec_lo, exec_lo, s4
	s_waitcnt lgkmcnt(0)
	s_waitcnt_vscnt null, 0x0
	s_barrier
	buffer_gl0_inv
	s_trap 2
	ds_read_b32 v0, v0
	s_waitcnt lgkmcnt(0)
	v_cmp_gt_i32_e32 vcc_lo, 1, v0
	s_cbranch_vccnz .LBB5_13
; %bb.6:
	v_mov_b32_e32 v41, 5
	s_mov_b32 s56, 0
	s_inst_prefetch 0x1
	s_branch .LBB5_8
	.p2align	6
.LBB5_7:                                ;   in Loop: Header=BB5_8 Depth=1
	s_or_b32 exec_lo, exec_lo, s57
	s_trap 2
	ds_read_b32 v0, v0
	s_add_i32 s56, s56, 1
	s_waitcnt lgkmcnt(0)
	v_cmp_lt_i32_e32 vcc_lo, s56, v0
	s_cbranch_vccz .LBB5_13
.LBB5_8:                                ; =>This Inner Loop Header: Depth=1
	s_trap 2
	ds_read_b32 v0, v0
	s_cmp_eq_u32 s56, 0
	s_cbranch_scc1 .LBB5_11
; %bb.9:                                ;   in Loop: Header=BB5_8 Depth=1
	s_trap 2
	s_waitcnt lgkmcnt(0)
	ds_read_b32 v1, v0
	s_waitcnt lgkmcnt(0)
	v_xor_b32_e32 v1, v1, v0
	v_and_b32_e32 v1, 0xff0000, v1
	v_cmp_eq_u32_e32 vcc_lo, 0, v1
	s_cbranch_vccnz .LBB5_11
; %bb.10:                               ;   in Loop: Header=BB5_8 Depth=1
	s_barrier
	buffer_gl0_inv
	ds_read_b32 v0, v0
.LBB5_11:                               ;   in Loop: Header=BB5_8 Depth=1
	s_waitcnt lgkmcnt(0)
	v_lshlrev_b32_sdwa v1, v41, v0 dst_sel:DWORD dst_unused:UNUSED_PAD src0_sel:DWORD src1_sel:BYTE_2
	s_mov_b32 s57, exec_lo
	v_cmpx_lt_u32_e64 v40, v1
	s_cbranch_execz .LBB5_7
; %bb.12:                               ;   in Loop: Header=BB5_8 Depth=1
	s_mov_b64 s[4:5], src_shared_base
	v_mov_b32_e32 v0, v40
	v_mov_b32_e32 v3, s5
	s_getpc_b64 s[6:7]
	s_add_u32 s6, s6, _ZN12_GLOBAL__N_17runRingI12rccl_bfloat810FuncMinMaxIS1_E7ProtoLLLi0ELi4ELi0EEEviiP15ncclDevWorkColl@rel32@lo+4
	s_addc_u32 s7, s7, _ZN12_GLOBAL__N_17runRingI12rccl_bfloat810FuncMinMaxIS1_E7ProtoLLLi0ELi4ELi0EEEviiP15ncclDevWorkColl@rel32@hi+12
	s_mov_b64 s[8:9], s[46:47]
	s_mov_b32 s12, s45
	s_swappc_b64 s[30:31], s[6:7]
	s_branch .LBB5_7
.LBB5_13:
	s_inst_prefetch 0x2
	s_clause 0x1
	buffer_load_dword v41, off, s[0:3], s33
	buffer_load_dword v40, off, s[0:3], s33 offset:4
	v_readlane_b32 s30, v42, 0
	v_readlane_b32 s31, v42, 1
	s_mov_b32 s32, s33
	s_or_saveexec_b32 s4, -1
	buffer_load_dword v42, off, s[0:3], s33 offset:8 ; 4-byte Folded Reload
	s_mov_b32 exec_lo, s4
	s_mov_b32 s33, s58
	s_waitcnt vmcnt(0)
	s_setpc_b64 s[30:31]
.Lfunc_end5:
	.size	_Z53ncclDevFunc_ReduceScatter_RING_LL_MinMax_f8e5m2_0_0_4v, .Lfunc_end5-_Z53ncclDevFunc_ReduceScatter_RING_LL_MinMax_f8e5m2_0_0_4v
                                        ; -- End function
	.set .L_Z53ncclDevFunc_ReduceScatter_RING_LL_MinMax_f8e5m2_0_0_4v.num_vgpr, max(43, .L_ZN12_GLOBAL__N_17runRingI12rccl_bfloat810FuncMinMaxIS1_E7ProtoLLLi0ELi4ELi0EEEviiP15ncclDevWorkColl.num_vgpr)
	.set .L_Z53ncclDevFunc_ReduceScatter_RING_LL_MinMax_f8e5m2_0_0_4v.num_agpr, max(0, .L_ZN12_GLOBAL__N_17runRingI12rccl_bfloat810FuncMinMaxIS1_E7ProtoLLLi0ELi4ELi0EEEviiP15ncclDevWorkColl.num_agpr)
	.set .L_Z53ncclDevFunc_ReduceScatter_RING_LL_MinMax_f8e5m2_0_0_4v.numbered_sgpr, max(59, .L_ZN12_GLOBAL__N_17runRingI12rccl_bfloat810FuncMinMaxIS1_E7ProtoLLLi0ELi4ELi0EEEviiP15ncclDevWorkColl.numbered_sgpr)
	.set .L_Z53ncclDevFunc_ReduceScatter_RING_LL_MinMax_f8e5m2_0_0_4v.num_named_barrier, max(0, .L_ZN12_GLOBAL__N_17runRingI12rccl_bfloat810FuncMinMaxIS1_E7ProtoLLLi0ELi4ELi0EEEviiP15ncclDevWorkColl.num_named_barrier)
	.set .L_Z53ncclDevFunc_ReduceScatter_RING_LL_MinMax_f8e5m2_0_0_4v.private_seg_size, 16+max(.L_ZN12_GLOBAL__N_17runRingI12rccl_bfloat810FuncMinMaxIS1_E7ProtoLLLi0ELi4ELi0EEEviiP15ncclDevWorkColl.private_seg_size)
	.set .L_Z53ncclDevFunc_ReduceScatter_RING_LL_MinMax_f8e5m2_0_0_4v.uses_vcc, or(1, .L_ZN12_GLOBAL__N_17runRingI12rccl_bfloat810FuncMinMaxIS1_E7ProtoLLLi0ELi4ELi0EEEviiP15ncclDevWorkColl.uses_vcc)
	.set .L_Z53ncclDevFunc_ReduceScatter_RING_LL_MinMax_f8e5m2_0_0_4v.uses_flat_scratch, or(0, .L_ZN12_GLOBAL__N_17runRingI12rccl_bfloat810FuncMinMaxIS1_E7ProtoLLLi0ELi4ELi0EEEviiP15ncclDevWorkColl.uses_flat_scratch)
	.set .L_Z53ncclDevFunc_ReduceScatter_RING_LL_MinMax_f8e5m2_0_0_4v.has_dyn_sized_stack, or(0, .L_ZN12_GLOBAL__N_17runRingI12rccl_bfloat810FuncMinMaxIS1_E7ProtoLLLi0ELi4ELi0EEEviiP15ncclDevWorkColl.has_dyn_sized_stack)
	.set .L_Z53ncclDevFunc_ReduceScatter_RING_LL_MinMax_f8e5m2_0_0_4v.has_recursion, or(1, .L_ZN12_GLOBAL__N_17runRingI12rccl_bfloat810FuncMinMaxIS1_E7ProtoLLLi0ELi4ELi0EEEviiP15ncclDevWorkColl.has_recursion)
	.set .L_Z53ncclDevFunc_ReduceScatter_RING_LL_MinMax_f8e5m2_0_0_4v.has_indirect_call, or(0, .L_ZN12_GLOBAL__N_17runRingI12rccl_bfloat810FuncMinMaxIS1_E7ProtoLLLi0ELi4ELi0EEEviiP15ncclDevWorkColl.has_indirect_call)
	.section	.AMDGPU.csdata,"",@progbits
; Function info:
; codeLenInByte = 644
; TotalNumSgprs: 61
; NumVgprs: 120
; ScratchSize: 112
; MemoryBound: 0
	.text
	.p2alignl 6, 3214868480
	.fill 48, 4, 3214868480
	.section	.AMDGPU.gpr_maximums,"",@progbits
	.set amdgpu.max_num_vgpr, 120
	.set amdgpu.max_num_agpr, 0
	.set amdgpu.max_num_sgpr, 59
	.text
	.type	__hip_cuid_cdd8d5406c58a830,@object ; @__hip_cuid_cdd8d5406c58a830
	.section	.bss,"aw",@nobits
	.globl	__hip_cuid_cdd8d5406c58a830
__hip_cuid_cdd8d5406c58a830:
	.byte	0                               ; 0x0
	.size	__hip_cuid_cdd8d5406c58a830, 1

	.ident	"AMD clang version 22.0.0git (https://github.com/RadeonOpenCompute/llvm-project roc-7.2.4 26084 f58b06dce1f9c15707c5f808fd002e18c2accf7e)"
	.section	".note.GNU-stack","",@progbits
	.addrsig
	.addrsig_sym _Z53ncclDevFunc_ReduceScatter_RING_LL_MinMax_f8e5m2_0_0_1v
	.addrsig_sym _Z53ncclDevFunc_ReduceScatter_RING_LL_MinMax_f8e5m2_0_0_2v
	.addrsig_sym _Z53ncclDevFunc_ReduceScatter_RING_LL_MinMax_f8e5m2_0_0_4v
	.addrsig_sym ncclShmem
	.addrsig_sym __hip_cuid_cdd8d5406c58a830
	.amdgpu_metadata
---
amdhsa.kernels:  []
amdhsa.target:   amdgcn-amd-amdhsa--gfx1030
amdhsa.version:
  - 1
  - 2
...

	.end_amdgpu_metadata
